;; amdgpu-corpus repo=ROCm/rocFFT kind=compiled arch=gfx1030 opt=O3
	.text
	.amdgcn_target "amdgcn-amd-amdhsa--gfx1030"
	.amdhsa_code_object_version 6
	.protected	bluestein_single_back_len1820_dim1_half_op_CI_CI ; -- Begin function bluestein_single_back_len1820_dim1_half_op_CI_CI
	.globl	bluestein_single_back_len1820_dim1_half_op_CI_CI
	.p2align	8
	.type	bluestein_single_back_len1820_dim1_half_op_CI_CI,@function
bluestein_single_back_len1820_dim1_half_op_CI_CI: ; @bluestein_single_back_len1820_dim1_half_op_CI_CI
; %bb.0:
	s_load_dwordx4 s[12:15], s[4:5], 0x28
	v_mul_u32_u24_e32 v1, 0x169, v0
	v_mov_b32_e32 v21, 0
	s_mov_b32 s0, exec_lo
	v_lshrrev_b32_e32 v1, 16, v1
	v_add_nc_u32_e32 v20, s6, v1
	s_waitcnt lgkmcnt(0)
	v_cmpx_gt_u64_e64 s[12:13], v[20:21]
	s_cbranch_execz .LBB0_18
; %bb.1:
	s_clause 0x1
	s_load_dwordx4 s[8:11], s[4:5], 0x18
	s_load_dwordx4 s[0:3], s[4:5], 0x0
	v_mul_lo_u16 v1, 0xb6, v1
	s_load_dwordx2 s[4:5], s[4:5], 0x38
                                        ; implicit-def: $vgpr70
                                        ; implicit-def: $vgpr63
                                        ; implicit-def: $vgpr71
	v_sub_nc_u16 v1, v0, v1
	v_and_b32_e32 v48, 0xffff, v1
	v_lshlrev_b32_e32 v51, 2, v48
	s_waitcnt lgkmcnt(0)
	s_load_dwordx4 s[16:19], s[8:9], 0x0
	s_clause 0x2
	global_load_dword v50, v51, s[0:1]
	global_load_dword v49, v51, s[0:1] offset:728
	global_load_dword v47, v51, s[0:1] offset:1456
	v_add_co_u32 v30, s6, s0, v51
	v_add_co_ci_u32_e64 v31, null, s1, 0, s6
	v_add_nc_u32_e32 v18, 0x1600, v51
	s_waitcnt lgkmcnt(0)
	v_mad_u64_u32 v[2:3], null, s18, v20, 0
	v_mad_u64_u32 v[4:5], null, s16, v48, 0
	s_mul_i32 s0, s17, 0x2d8
	s_mul_hi_u32 s1, s16, 0x2d8
	s_mul_i32 s6, s16, 0x2d8
	s_add_i32 s1, s1, s0
	v_mov_b32_e32 v0, v3
	v_mov_b32_e32 v3, v5
	v_mad_u64_u32 v[5:6], null, s19, v20, v[0:1]
	v_mad_u64_u32 v[6:7], null, s17, v48, v[3:4]
	v_add_co_u32 v7, vcc_lo, 0x800, v30
	v_add_co_ci_u32_e32 v8, vcc_lo, 0, v31, vcc_lo
	v_mov_b32_e32 v3, v5
	v_add_co_u32 v9, vcc_lo, 0x1000, v30
	v_mov_b32_e32 v5, v6
	v_add_co_ci_u32_e32 v10, vcc_lo, 0, v31, vcc_lo
	v_lshlrev_b64 v[2:3], 2, v[2:3]
	global_load_dword v46, v[7:8], off offset:136
	v_lshlrev_b64 v[4:5], 2, v[4:5]
	v_add_co_u32 v0, vcc_lo, s14, v2
	v_add_co_ci_u32_e32 v3, vcc_lo, s15, v3, vcc_lo
	v_add_co_u32 v2, vcc_lo, v0, v4
	v_add_co_ci_u32_e32 v3, vcc_lo, v3, v5, vcc_lo
	v_add_nc_u32_e32 v0, 0x1000, v51
	v_add_co_u32 v4, vcc_lo, v2, s6
	v_add_co_ci_u32_e32 v5, vcc_lo, s1, v3, vcc_lo
	s_clause 0x1
	global_load_dword v11, v[2:3], off
	global_load_dword v12, v[4:5], off
	v_add_co_u32 v2, vcc_lo, v4, s6
	v_add_co_ci_u32_e32 v3, vcc_lo, s1, v5, vcc_lo
	v_add_co_u32 v4, vcc_lo, v2, s6
	v_add_co_ci_u32_e32 v5, vcc_lo, s1, v3, vcc_lo
	s_clause 0x1
	global_load_dword v13, v[2:3], off
	global_load_dword v14, v[4:5], off
	v_add_co_u32 v2, vcc_lo, v4, s6
	v_add_co_ci_u32_e32 v3, vcc_lo, s1, v5, vcc_lo
	v_add_co_u32 v4, vcc_lo, v2, s6
	v_add_co_ci_u32_e32 v5, vcc_lo, s1, v3, vcc_lo
	global_load_dword v15, v[2:3], off
	v_add_co_u32 v2, vcc_lo, v4, s6
	v_add_co_ci_u32_e32 v3, vcc_lo, s1, v5, vcc_lo
	s_clause 0x1
	global_load_dword v45, v[7:8], off offset:864
	global_load_dword v44, v[7:8], off offset:1592
	v_add_co_u32 v6, vcc_lo, v2, s6
	v_add_co_ci_u32_e32 v7, vcc_lo, s1, v3, vcc_lo
	global_load_dword v8, v[4:5], off
	v_add_co_u32 v4, vcc_lo, v6, s6
	v_add_co_ci_u32_e32 v5, vcc_lo, s1, v7, vcc_lo
	global_load_dword v16, v[2:3], off
	s_clause 0x1
	global_load_dword v43, v[9:10], off offset:272
	global_load_dword v42, v[9:10], off offset:1000
	global_load_dword v6, v[6:7], off
	global_load_dword v7, v[4:5], off
	v_add_co_u32 v2, vcc_lo, v4, s6
	v_add_co_ci_u32_e32 v3, vcc_lo, s1, v5, vcc_lo
	v_add_co_u32 v23, vcc_lo, 0x1800, v30
	v_add_co_ci_u32_e32 v24, vcc_lo, 0, v31, vcc_lo
	global_load_dword v2, v[2:3], off
	s_clause 0x1
	global_load_dword v41, v[9:10], off offset:1728
	global_load_dword v40, v[23:24], off offset:408
	v_add_nc_u32_e32 v4, 0x500, v51
	v_add_nc_u32_e32 v5, 0xb00, v51
	s_load_dwordx4 s[8:11], s[10:11], 0x0
	v_cmp_gt_u16_e32 vcc_lo, 0x8c, v1
	s_waitcnt vmcnt(15)
	v_lshrrev_b32_e32 v3, 16, v11
	v_mul_f16_sdwa v9, v50, v11 dst_sel:DWORD dst_unused:UNUSED_PAD src0_sel:WORD_1 src1_sel:DWORD
	s_waitcnt vmcnt(14)
	v_lshrrev_b32_e32 v17, 16, v12
	v_mul_f16_sdwa v19, v49, v12 dst_sel:DWORD dst_unused:UNUSED_PAD src0_sel:WORD_1 src1_sel:DWORD
	v_mul_f16_sdwa v10, v50, v3 dst_sel:DWORD dst_unused:UNUSED_PAD src0_sel:WORD_1 src1_sel:DWORD
	v_fma_f16 v3, v50, v3, -v9
	v_mul_f16_sdwa v9, v49, v17 dst_sel:DWORD dst_unused:UNUSED_PAD src0_sel:WORD_1 src1_sel:DWORD
	v_fma_f16 v17, v49, v17, -v19
	v_fmac_f16_e32 v10, v50, v11
	s_waitcnt vmcnt(13)
	v_lshrrev_b32_e32 v11, 16, v13
	v_mul_f16_sdwa v19, v47, v13 dst_sel:DWORD dst_unused:UNUSED_PAD src0_sel:WORD_1 src1_sel:DWORD
	v_pack_b32_f16 v3, v10, v3
	v_fmac_f16_e32 v9, v49, v12
	s_waitcnt vmcnt(12)
	v_lshrrev_b32_e32 v12, 16, v14
	v_mul_f16_sdwa v10, v47, v11 dst_sel:DWORD dst_unused:UNUSED_PAD src0_sel:WORD_1 src1_sel:DWORD
	v_fma_f16 v11, v47, v11, -v19
	v_mul_f16_sdwa v19, v46, v14 dst_sel:DWORD dst_unused:UNUSED_PAD src0_sel:WORD_1 src1_sel:DWORD
	v_pack_b32_f16 v9, v9, v17
	v_fmac_f16_e32 v10, v47, v13
	v_mul_f16_sdwa v13, v46, v12 dst_sel:DWORD dst_unused:UNUSED_PAD src0_sel:WORD_1 src1_sel:DWORD
	v_fma_f16 v12, v46, v12, -v19
	s_waitcnt vmcnt(11)
	v_lshrrev_b32_e32 v17, 16, v15
	v_pack_b32_f16 v10, v10, v11
	v_fmac_f16_e32 v13, v46, v14
	s_waitcnt vmcnt(10)
	v_mul_f16_sdwa v21, v45, v15 dst_sel:DWORD dst_unused:UNUSED_PAD src0_sel:WORD_1 src1_sel:DWORD
	v_mul_f16_sdwa v11, v45, v17 dst_sel:DWORD dst_unused:UNUSED_PAD src0_sel:WORD_1 src1_sel:DWORD
	v_pack_b32_f16 v12, v13, v12
	v_fma_f16 v14, v45, v17, -v21
	s_waitcnt vmcnt(8)
	v_lshrrev_b32_e32 v17, 16, v8
	v_mul_f16_sdwa v19, v44, v8 dst_sel:DWORD dst_unused:UNUSED_PAD src0_sel:WORD_1 src1_sel:DWORD
	v_fmac_f16_e32 v11, v45, v15
	s_waitcnt vmcnt(7)
	v_lshrrev_b32_e32 v13, 16, v16
	v_mul_f16_sdwa v15, v44, v17 dst_sel:DWORD dst_unused:UNUSED_PAD src0_sel:WORD_1 src1_sel:DWORD
	v_fma_f16 v17, v44, v17, -v19
	s_waitcnt vmcnt(6)
	v_mul_f16_sdwa v19, v43, v16 dst_sel:DWORD dst_unused:UNUSED_PAD src0_sel:WORD_1 src1_sel:DWORD
	v_pack_b32_f16 v11, v11, v14
	v_mul_f16_sdwa v14, v43, v13 dst_sel:DWORD dst_unused:UNUSED_PAD src0_sel:WORD_1 src1_sel:DWORD
	v_fmac_f16_e32 v15, v44, v8
	s_waitcnt vmcnt(4)
	v_lshrrev_b32_e32 v8, 16, v6
	v_fma_f16 v13, v43, v13, -v19
	v_mul_f16_sdwa v19, v42, v6 dst_sel:DWORD dst_unused:UNUSED_PAD src0_sel:WORD_1 src1_sel:DWORD
	v_fmac_f16_e32 v14, v43, v16
	s_waitcnt vmcnt(3)
	v_lshrrev_b32_e32 v16, 16, v7
	s_waitcnt vmcnt(2)
	v_lshrrev_b32_e32 v22, 16, v2
	v_mul_f16_sdwa v21, v42, v8 dst_sel:DWORD dst_unused:UNUSED_PAD src0_sel:WORD_1 src1_sel:DWORD
	v_fma_f16 v8, v42, v8, -v19
	s_waitcnt vmcnt(1)
	v_mul_f16_sdwa v19, v41, v7 dst_sel:DWORD dst_unused:UNUSED_PAD src0_sel:WORD_1 src1_sel:DWORD
	v_mul_f16_sdwa v25, v41, v16 dst_sel:DWORD dst_unused:UNUSED_PAD src0_sel:WORD_1 src1_sel:DWORD
	s_waitcnt vmcnt(0)
	v_mul_f16_sdwa v26, v40, v2 dst_sel:DWORD dst_unused:UNUSED_PAD src0_sel:WORD_1 src1_sel:DWORD
	v_mul_f16_sdwa v27, v40, v22 dst_sel:DWORD dst_unused:UNUSED_PAD src0_sel:WORD_1 src1_sel:DWORD
	v_fmac_f16_e32 v21, v42, v6
	v_fma_f16 v6, v41, v16, -v19
	v_fmac_f16_e32 v25, v41, v7
	v_fma_f16 v7, v40, v22, -v26
	v_fmac_f16_e32 v27, v40, v2
	v_pack_b32_f16 v2, v15, v17
	v_pack_b32_f16 v13, v14, v13
	;; [unrolled: 1-line block ×5, first 2 shown]
	ds_write2_b32 v51, v3, v9 offset1:182
	ds_write2_b32 v4, v10, v12 offset0:44 offset1:226
	ds_write2_b32 v5, v11, v2 offset0:24 offset1:206
	;; [unrolled: 1-line block ×4, first 2 shown]
	s_waitcnt lgkmcnt(0)
	s_barrier
	buffer_gl0_inv
	ds_read2_b32 v[2:3], v4 offset0:44 offset1:226
	ds_read2_b32 v[4:5], v5 offset0:24 offset1:206
	ds_read2_b32 v[6:7], v0 offset0:68 offset1:250
	ds_read2_b32 v[8:9], v18 offset0:48 offset1:230
	ds_read2_b32 v[10:11], v51 offset1:182
	v_mul_lo_u16 v13, v1, 10
	v_mov_b32_e32 v12, 2
	s_waitcnt lgkmcnt(0)
	s_barrier
	buffer_gl0_inv
	v_lshlrev_b32_sdwa v54, v12, v13 dst_sel:DWORD dst_unused:UNUSED_PAD src0_sel:DWORD src1_sel:WORD_0
	v_sub_f16_e32 v15, v2, v4
	v_add_f16_e32 v1, v4, v6
	v_sub_f16_e32 v14, v8, v6
	v_add_f16_e32 v16, v2, v8
	v_sub_f16_e32 v17, v6, v8
	v_sub_f16_e32 v18, v4, v2
	v_add_f16_sdwa v21, v4, v6 dst_sel:DWORD dst_unused:UNUSED_PAD src0_sel:WORD_1 src1_sel:WORD_1
	v_lshrrev_b32_e32 v26, 16, v10
	v_sub_f16_sdwa v27, v2, v4 dst_sel:DWORD dst_unused:UNUSED_PAD src0_sel:WORD_1 src1_sel:WORD_1
	v_sub_f16_sdwa v28, v8, v6 dst_sel:DWORD dst_unused:UNUSED_PAD src0_sel:WORD_1 src1_sel:WORD_1
	v_add_f16_e32 v33, v5, v7
	v_add_f16_e32 v38, v3, v9
	v_pk_add_f16 v53, v11, v3
	v_add_f16_sdwa v57, v3, v9 dst_sel:DWORD dst_unused:UNUSED_PAD src0_sel:WORD_1 src1_sel:WORD_1
	v_add_f16_sdwa v58, v5, v7 dst_sel:DWORD dst_unused:UNUSED_PAD src0_sel:WORD_1 src1_sel:WORD_1
	v_lshrrev_b32_e32 v59, 16, v11
	v_pk_add_f16 v19, v10, v2
	v_add_f16_sdwa v29, v2, v8 dst_sel:DWORD dst_unused:UNUSED_PAD src0_sel:WORD_1 src1_sel:WORD_1
	v_sub_f16_sdwa v34, v3, v9 dst_sel:DWORD dst_unused:UNUSED_PAD src0_sel:WORD_1 src1_sel:WORD_1
	v_sub_f16_sdwa v35, v5, v7 dst_sel:DWORD dst_unused:UNUSED_PAD src0_sel:WORD_1 src1_sel:WORD_1
	v_sub_f16_e32 v36, v9, v7
	v_sub_f16_e32 v37, v3, v5
	;; [unrolled: 1-line block ×5, first 2 shown]
	v_sub_f16_sdwa v56, v3, v5 dst_sel:DWORD dst_unused:UNUSED_PAD src0_sel:WORD_1 src1_sel:WORD_1
	v_sub_f16_sdwa v3, v5, v3 dst_sel:DWORD dst_unused:UNUSED_PAD src0_sel:WORD_1 src1_sel:WORD_1
	v_sub_f16_e32 v60, v5, v7
	v_add_f16_e32 v14, v15, v14
	v_add_f16_e32 v15, v18, v17
	;; [unrolled: 1-line block ×3, first 2 shown]
	v_fma_f16 v27, -0.5, v21, v26
	v_fma_f16 v1, -0.5, v1, v10
	;; [unrolled: 1-line block ×5, first 2 shown]
	v_pk_add_f16 v5, v53, v5
	v_fma_f16 v21, -0.5, v58, v59
	v_fmac_f16_e32 v59, -0.5, v57
	v_sub_f16_sdwa v12, v2, v8 dst_sel:DWORD dst_unused:UNUSED_PAD src0_sel:WORD_1 src1_sel:WORD_1
	v_sub_f16_sdwa v13, v4, v6 dst_sel:DWORD dst_unused:UNUSED_PAD src0_sel:WORD_1 src1_sel:WORD_1
	v_sub_f16_e32 v22, v2, v8
	v_sub_f16_e32 v25, v4, v6
	v_sub_f16_sdwa v2, v4, v2 dst_sel:DWORD dst_unused:UNUSED_PAD src0_sel:WORD_1 src1_sel:WORD_1
	v_sub_f16_sdwa v32, v6, v8 dst_sel:DWORD dst_unused:UNUSED_PAD src0_sel:WORD_1 src1_sel:WORD_1
	;; [unrolled: 1-line block ×4, first 2 shown]
	v_fmac_f16_e32 v26, -0.5, v29
	v_pk_add_f16 v4, v19, v4
	v_add_f16_e32 v18, v37, v36
	v_add_f16_e32 v19, v52, v39
	v_fmamk_f16 v37, v34, 0x3b9c, v16
	v_fmac_f16_e32 v16, 0xbb9c, v34
	v_fmamk_f16 v38, v35, 0xbb9c, v11
	v_fmac_f16_e32 v11, 0x3b9c, v35
	v_pk_add_f16 v5, v5, v7
	v_fmamk_f16 v7, v55, 0xbb9c, v21
	v_fmac_f16_e32 v21, 0x3b9c, v55
	v_fmamk_f16 v39, v60, 0x3b9c, v59
	v_fmac_f16_e32 v59, 0xbb9c, v60
	v_add_f16_e32 v2, v2, v32
	v_add_f16_e32 v28, v56, v61
	;; [unrolled: 1-line block ×3, first 2 shown]
	v_fmamk_f16 v32, v12, 0x3b9c, v1
	v_fmac_f16_e32 v1, 0xbb9c, v12
	v_pk_add_f16 v4, v4, v6
	v_fmamk_f16 v36, v25, 0x3b9c, v26
	v_fmac_f16_e32 v26, 0xbb9c, v25
	v_fmac_f16_e32 v37, 0x38b4, v35
	;; [unrolled: 1-line block ×8, first 2 shown]
	v_fmamk_f16 v33, v13, 0xbb9c, v10
	v_fmac_f16_e32 v10, 0x3b9c, v13
	v_fmamk_f16 v6, v22, 0xbb9c, v27
	v_fmac_f16_e32 v27, 0x3b9c, v22
	v_fmac_f16_e32 v32, 0x38b4, v13
	;; [unrolled: 1-line block ×3, first 2 shown]
	v_pk_add_f16 v4, v4, v8
	v_fmac_f16_e32 v36, 0xb8b4, v22
	v_fmac_f16_e32 v26, 0x38b4, v22
	v_pk_add_f16 v5, v5, v9
	v_fmac_f16_e32 v7, 0xb8b4, v60
	v_fmac_f16_e32 v37, 0x34f2, v18
	;; [unrolled: 1-line block ×17, first 2 shown]
	v_pk_add_f16 v12, v4, v5
	v_pk_add_f16 v29, v4, v5 neg_lo:[0,1] neg_hi:[0,1]
	v_mul_f16_e32 v2, 0x3a79, v37
	v_mul_f16_e32 v3, 0x3b9c, v39
	;; [unrolled: 1-line block ×8, first 2 shown]
	v_fmac_f16_e32 v33, 0x34f2, v15
	v_fmac_f16_e32 v10, 0x34f2, v15
	;; [unrolled: 1-line block ×6, first 2 shown]
	v_fma_f16 v4, v59, 0x3b9c, -v4
	v_fma_f16 v5, v21, 0x38b4, -v5
	v_fmac_f16_e32 v8, 0x3a79, v7
	v_fmac_f16_e32 v9, 0x34f2, v39
	v_fma_f16 v7, v11, 0xbb9c, -v13
	v_fma_f16 v11, v16, 0xb8b4, -v14
	v_add_f16_e32 v14, v32, v2
	v_add_f16_e32 v17, v33, v3
	;; [unrolled: 1-line block ×8, first 2 shown]
	v_sub_f16_e32 v21, v32, v2
	v_sub_f16_e32 v22, v33, v3
	;; [unrolled: 1-line block ×8, first 2 shown]
	v_pack_b32_f16 v13, v14, v61
	v_pack_b32_f16 v2, v18, v66
	;; [unrolled: 1-line block ×8, first 2 shown]
	ds_write2_b64 v54, v[12:13], v[1:2] offset1:1
	ds_write2_b64 v54, v[28:29], v[3:4] offset0:2 offset1:3
	ds_write_b64 v54, v[5:6] offset:32
	s_waitcnt lgkmcnt(0)
	s_barrier
	buffer_gl0_inv
                                        ; implicit-def: $vgpr27
                                        ; implicit-def: $vgpr62
	s_and_saveexec_b32 s0, vcc_lo
	s_cbranch_execz .LBB0_3
; %bb.2:
	v_add_nc_u32_e32 v1, 0x400, v51
	v_add_nc_u32_e32 v2, 0x800, v51
	ds_read2_b32 v[15:16], v0 offset0:96 offset1:236
	v_add_nc_u32_e32 v0, 0xc00, v51
	ds_read2_b32 v[13:14], v51 offset1:140
	ds_read_b32 v62, v51 offset:6720
	ds_read2_b32 v[17:18], v1 offset0:24 offset1:164
	v_add_nc_u32_e32 v1, 0x1500, v51
	ds_read2_b32 v[25:26], v2 offset0:48 offset1:188
	ds_read2_b32 v[21:22], v0 offset0:72 offset1:212
	;; [unrolled: 1-line block ×3, first 2 shown]
	s_waitcnt lgkmcnt(6)
	v_lshrrev_b32_e32 v60, 16, v15
	v_lshrrev_b32_e32 v59, 16, v16
	s_waitcnt lgkmcnt(5)
	v_lshrrev_b32_e32 v61, 16, v14
	s_waitcnt lgkmcnt(4)
	v_lshrrev_b32_e32 v63, 16, v62
	v_mov_b32_e32 v12, v13
	s_waitcnt lgkmcnt(3)
	v_lshrrev_b32_e32 v65, 16, v17
	v_lshrrev_b32_e32 v66, 16, v18
	s_waitcnt lgkmcnt(2)
	v_lshrrev_b32_e32 v67, 16, v25
	s_waitcnt lgkmcnt(1)
	v_lshrrev_b32_e32 v69, 16, v21
	v_lshrrev_b32_e32 v68, 16, v22
	s_waitcnt lgkmcnt(0)
	v_lshrrev_b32_e32 v70, 16, v27
	v_lshrrev_b32_e32 v71, 16, v28
	v_mov_b32_e32 v29, v26
.LBB0_3:
	s_or_b32 exec_lo, exec_lo, s0
	v_and_b32_e32 v0, 0xff, v48
	v_lshrrev_b32_e32 v72, 16, v29
	v_mul_lo_u16 v0, 0xcd, v0
	v_lshrrev_b16 v53, 11, v0
	v_mul_lo_u16 v0, v53, 10
	v_sub_nc_u16 v0, v48, v0
	v_and_b32_e32 v52, 0xff, v0
	v_mul_u32_u24_e32 v0, 12, v52
	v_lshlrev_b32_e32 v0, 2, v0
	s_clause 0x2
	global_load_dwordx4 v[4:7], v0, s[2:3]
	global_load_dwordx4 v[8:11], v0, s[2:3] offset:16
	global_load_dwordx4 v[0:3], v0, s[2:3] offset:32
	s_waitcnt vmcnt(0)
	s_barrier
	buffer_gl0_inv
	v_mul_f16_sdwa v56, v61, v4 dst_sel:DWORD dst_unused:UNUSED_PAD src0_sel:DWORD src1_sel:WORD_1
	v_mul_f16_sdwa v55, v14, v4 dst_sel:DWORD dst_unused:UNUSED_PAD src0_sel:DWORD src1_sel:WORD_1
	;; [unrolled: 1-line block ×18, first 2 shown]
	v_fma_f16 v64, v14, v4, -v56
	v_fmac_f16_e32 v55, v61, v4
	v_fma_f16 v14, v62, v3, -v82
	v_fmac_f16_e32 v33, v63, v3
	v_mul_f16_sdwa v38, v18, v6 dst_sel:DWORD dst_unused:UNUSED_PAD src0_sel:DWORD src1_sel:WORD_1
	v_mul_f16_sdwa v74, v67, v7 dst_sel:DWORD dst_unused:UNUSED_PAD src0_sel:DWORD src1_sel:WORD_1
	;; [unrolled: 1-line block ×6, first 2 shown]
	v_fma_f16 v58, v17, v5, -v57
	v_fma_f16 v57, v18, v6, -v73
	v_fmac_f16_e32 v39, v65, v5
	v_fmac_f16_e32 v37, v67, v7
	;; [unrolled: 1-line block ×5, first 2 shown]
	v_fma_f16 v18, v15, v11, -v78
	v_fmac_f16_e32 v19, v60, v11
	v_fma_f16 v17, v16, v0, -v79
	v_fmac_f16_e32 v13, v59, v0
	v_fma_f16 v15, v27, v1, -v80
	v_fma_f16 v16, v28, v2, -v81
	v_fmac_f16_e32 v26, v71, v2
	v_sub_f16_e32 v27, v55, v33
	v_sub_f16_e32 v28, v64, v14
	v_fma_f16 v56, v25, v7, -v74
	v_fmac_f16_e32 v38, v66, v6
	v_fma_f16 v29, v29, v8, -v75
	v_fma_f16 v25, v21, v9, -v76
	v_fma_f16 v21, v22, v10, -v77
	v_fmac_f16_e32 v32, v70, v1
	v_add_f16_e32 v81, v64, v14
	v_add_f16_e32 v82, v55, v33
	v_sub_f16_e32 v59, v39, v26
	v_sub_f16_e32 v60, v58, v16
	v_sub_f16_e32 v63, v37, v13
	v_sub_f16_e32 v66, v36, v19
	v_sub_f16_e32 v68, v35, v34
	v_mul_f16_e32 v70, 0xb770, v27
	v_mul_f16_e32 v72, 0xb770, v28
	;; [unrolled: 1-line block ×12, first 2 shown]
	v_add_f16_e32 v90, v58, v16
	v_add_f16_e32 v91, v39, v26
	v_sub_f16_e32 v61, v38, v32
	v_sub_f16_e32 v62, v57, v15
	;; [unrolled: 1-line block ×5, first 2 shown]
	v_mul_f16_e32 v22, 0xba95, v59
	v_mul_f16_e32 v71, 0xba95, v60
	v_mul_f16_e32 v86, 0xbb7b, v59
	v_mul_f16_e32 v93, 0xbb7b, v60
	v_mul_f16_e32 v99, 0xb3a8, v59
	v_mul_f16_e32 v106, 0xb3a8, v60
	v_mul_f16_e32 v107, 0x394e, v59
	v_mul_f16_e32 v123, 0x394e, v60
	v_mul_f16_e32 v129, 0x3bf1, v59
	v_mul_f16_e32 v137, 0x3bf1, v60
	v_mul_f16_e32 v142, 0x3770, v59
	v_mul_f16_e32 v147, 0x3770, v60
	v_mul_f16_e32 v75, 0xbb7b, v63
	v_mul_f16_e32 v84, 0x394e, v63
	v_mul_f16_e32 v100, 0x3770, v63
	v_mul_f16_e32 v116, 0xbbf1, v63
	v_mul_f16_e32 v130, 0x33a8, v63
	v_mul_f16_e32 v146, 0x3a95, v63
	v_mul_f16_e32 v77, 0xb94e, v66
	v_mul_f16_e32 v83, 0x3bf1, v66
	v_mul_f16_e32 v104, 0xba95, v66
	v_mul_f16_e32 v118, 0x33a8, v66
	v_mul_f16_e32 v133, 0x3770, v66
	v_mul_f16_e32 v145, 0xbb7b, v66
	v_mul_f16_e32 v78, 0xb3a8, v68
	v_mul_f16_e32 v85, 0x3770, v68
	v_mul_f16_e32 v88, 0xb94e, v68
	v_mul_f16_e32 v120, 0x3a95, v68
	v_mul_f16_e32 v136, 0xbb7b, v68
	v_mul_f16_e32 v140, 0x3bf1, v68
	v_fmamk_f16 v27, v81, 0x3b15, v70
	v_fma_f16 v28, v82, 0x3b15, -v72
	v_fmamk_f16 v60, v81, 0x388b, v87
	v_fma_f16 v63, v82, 0x388b, -v94
	;; [unrolled: 2-line block ×6, first 2 shown]
	v_add_f16_e32 v98, v57, v15
	v_add_f16_e32 v103, v38, v32
	v_mul_f16_e32 v73, 0xbbf1, v61
	v_mul_f16_e32 v74, 0xbbf1, v62
	;; [unrolled: 1-line block ×30, first 2 shown]
	v_fmamk_f16 v59, v90, 0x388b, v22
	v_fma_f16 v61, v91, 0x388b, -v71
	v_fmamk_f16 v62, v90, 0xb5ac, v86
	v_fma_f16 v65, v91, 0xb5ac, -v93
	;; [unrolled: 2-line block ×6, first 2 shown]
	v_add_f16_e32 v27, v12, v27
	v_add_f16_sdwa v28, v12, v28 dst_sel:DWORD dst_unused:UNUSED_PAD src0_sel:WORD_1 src1_sel:DWORD
	v_add_f16_e32 v60, v12, v60
	v_add_f16_sdwa v63, v12, v63 dst_sel:DWORD dst_unused:UNUSED_PAD src0_sel:WORD_1 src1_sel:DWORD
	;; [unrolled: 2-line block ×6, first 2 shown]
	v_add_f16_e32 v105, v56, v17
	v_add_f16_e32 v108, v37, v13
	v_fmamk_f16 v165, v98, 0x2fb7, v73
	v_fma_f16 v166, v103, 0x2fb7, -v74
	v_fmamk_f16 v167, v98, 0xbbc4, v92
	v_fma_f16 v168, v103, 0xbbc4, -v95
	v_fmamk_f16 v169, v98, 0xb5ac, v101
	v_fma_f16 v170, v103, 0xb5ac, -v110
	v_fmamk_f16 v171, v98, 0x3b15, v111
	v_fma_f16 v172, v103, 0x3b15, -v127
	v_fmamk_f16 v173, v98, 0x388b, v132
	v_fma_f16 v174, v103, 0x388b, -v134
	v_fmamk_f16 v175, v98, 0xb9fd, v144
	v_fma_f16 v176, v103, 0xb9fd, -v149
	v_add_f16_e32 v27, v59, v27
	v_add_f16_e32 v28, v61, v28
	v_add_f16_e32 v59, v62, v60
	v_add_f16_e32 v60, v65, v63
	v_add_f16_e32 v61, v67, v66
	v_add_f16_e32 v62, v69, v68
	v_add_f16_e32 v63, v154, v153
	v_add_f16_e32 v65, v156, v155
	v_add_f16_e32 v66, v158, v157
	v_add_f16_e32 v67, v160, v159
	v_add_f16_e32 v68, v162, v161
	v_add_f16_e32 v69, v164, v163
	v_add_f16_e32 v112, v29, v18
	v_add_f16_e32 v119, v36, v19
	v_fmamk_f16 v177, v105, 0xb5ac, v75
	v_fma_f16 v178, v108, 0xb5ac, -v76
	v_fmamk_f16 v179, v105, 0xb9fd, v84
	v_fma_f16 v180, v108, 0xb9fd, -v96
	v_fmamk_f16 v181, v105, 0x3b15, v100
	v_fma_f16 v182, v108, 0x3b15, -v113
	v_fmamk_f16 v183, v105, 0x2fb7, v116
	v_fma_f16 v184, v108, 0x2fb7, -v122
	v_fmamk_f16 v185, v105, 0xbbc4, v130
	v_fma_f16 v186, v108, 0xbbc4, -v135
	v_fmamk_f16 v187, v105, 0x388b, v146
	v_fma_f16 v188, v108, 0x388b, -v150
	v_add_f16_e32 v27, v165, v27
	v_add_f16_e32 v28, v166, v28
	v_add_f16_e32 v59, v167, v59
	v_add_f16_e32 v60, v168, v60
	v_add_f16_e32 v61, v169, v61
	v_add_f16_e32 v62, v170, v62
	v_add_f16_e32 v63, v171, v63
	v_add_f16_e32 v65, v172, v65
	v_add_f16_e32 v66, v173, v66
	v_add_f16_e32 v67, v174, v67
	v_add_f16_e32 v68, v175, v68
	v_add_f16_e32 v69, v176, v69
	;; [unrolled: 26-line block ×3, first 2 shown]
	v_fmamk_f16 v201, v121, 0xbbc4, v78
	v_fma_f16 v202, v124, 0xbbc4, -v80
	v_fmamk_f16 v203, v121, 0x3b15, v85
	v_fma_f16 v204, v124, 0x3b15, -v89
	v_fmamk_f16 v205, v121, 0xb9fd, v88
	v_fma_f16 v206, v124, 0xb9fd, -v117
	v_fmamk_f16 v207, v121, 0x388b, v120
	v_fma_f16 v208, v124, 0x388b, -v128
	v_fmamk_f16 v209, v121, 0xb5ac, v136
	v_fma_f16 v210, v124, 0xb5ac, -v141
	v_fmamk_f16 v211, v121, 0x2fb7, v140
	v_fma_f16 v212, v124, 0x2fb7, -v152
	v_add_f16_e32 v27, v189, v27
	v_add_f16_e32 v28, v190, v28
	;; [unrolled: 1-line block ×24, first 2 shown]
	s_and_saveexec_b32 s0, vcc_lo
	s_cbranch_execz .LBB0_5
; %bb.4:
	v_mul_f16_e32 v154, 0x3b15, v82
	v_mul_f16_e32 v156, 0x388b, v82
	;; [unrolled: 1-line block ×12, first 2 shown]
	v_add_f16_e32 v82, v148, v82
	v_mul_f16_e32 v153, 0x3b15, v81
	v_mul_f16_e32 v155, 0x388b, v81
	;; [unrolled: 1-line block ×3, first 2 shown]
	v_add_f16_e32 v91, v147, v91
	v_add_f16_sdwa v82, v12, v82 dst_sel:DWORD dst_unused:UNUSED_PAD src0_sel:WORD_1 src1_sel:DWORD
	v_mul_f16_e32 v147, 0xb9fd, v103
	v_mul_f16_e32 v159, 0xb5ac, v81
	v_mul_f16_e32 v161, 0xb9fd, v81
	v_mul_f16_e32 v81, 0xbbc4, v81
	v_add_f16_e32 v82, v91, v82
	v_add_f16_e32 v91, v149, v147
	v_mul_f16_e32 v147, 0x388b, v108
	v_mul_f16_e32 v163, 0x388b, v90
	;; [unrolled: 1-line block ×7, first 2 shown]
	v_add_f16_e32 v82, v91, v82
	v_add_f16_e32 v91, v150, v147
	v_mul_f16_e32 v150, 0xb5ac, v119
	v_sub_f16_e32 v81, v81, v143
	v_sub_f16_e32 v87, v155, v87
	v_add_f16_e32 v64, v12, v64
	v_add_f16_sdwa v55, v12, v55 dst_sel:DWORD dst_unused:UNUSED_PAD src0_sel:WORD_1 src1_sel:DWORD
	v_mul_f16_e32 v173, 0x2fb7, v98
	v_mul_f16_e32 v175, 0xbbc4, v98
	;; [unrolled: 1-line block ×6, first 2 shown]
	v_add_f16_e32 v82, v91, v82
	v_add_f16_e32 v150, v151, v150
	v_sub_f16_e32 v90, v90, v142
	v_mul_f16_e32 v142, 0x2fb7, v124
	v_add_f16_e32 v81, v12, v81
	v_add_f16_e32 v87, v12, v87
	v_sub_f16_e32 v86, v165, v86
	v_add_f16_e32 v58, v64, v58
	v_add_f16_e32 v39, v55, v39
	v_mul_f16_e32 v149, 0xb5ac, v105
	v_mul_f16_e32 v182, 0xb9fd, v105
	;; [unrolled: 1-line block ×6, first 2 shown]
	v_add_f16_e32 v82, v150, v82
	v_add_f16_e32 v142, v152, v142
	;; [unrolled: 1-line block ×3, first 2 shown]
	v_sub_f16_e32 v90, v98, v144
	v_add_f16_e32 v139, v139, v162
	v_add_f16_e32 v86, v86, v87
	v_sub_f16_e32 v87, v175, v92
	v_add_f16_e32 v57, v58, v57
	v_add_f16_e32 v38, v39, v38
	v_mul_f16_e32 v174, 0x2fb7, v103
	v_mul_f16_e32 v176, 0xbbc4, v103
	;; [unrolled: 1-line block ×7, first 2 shown]
	v_add_f16_e32 v82, v142, v82
	v_mul_f16_e32 v142, 0x388b, v112
	v_add_f16_e32 v81, v90, v81
	v_sub_f16_e32 v105, v105, v146
	v_mul_f16_e32 v146, 0xbbc4, v112
	v_add_f16_e32 v137, v137, v172
	v_mul_f16_e32 v172, 0x3b15, v112
	v_mul_f16_e32 v112, 0xb5ac, v112
	v_add_f16_sdwa v139, v12, v139 dst_sel:DWORD dst_unused:UNUSED_PAD src0_sel:WORD_1 src1_sel:DWORD
	v_add_f16_e32 v86, v87, v86
	v_sub_f16_e32 v84, v182, v84
	v_add_f16_e32 v56, v57, v56
	v_add_f16_e32 v37, v38, v37
	v_mul_f16_e32 v181, 0xb5ac, v108
	v_mul_f16_e32 v147, 0xb9fd, v108
	;; [unrolled: 1-line block ×5, first 2 shown]
	v_add_f16_e32 v81, v105, v81
	v_sub_f16_e32 v112, v112, v145
	v_add_f16_e32 v137, v137, v139
	v_add_f16_e32 v103, v134, v103
	;; [unrolled: 1-line block ×3, first 2 shown]
	v_sub_f16_e32 v55, v98, v83
	v_add_f16_e32 v29, v56, v29
	v_add_f16_e32 v36, v37, v36
	v_mul_f16_e32 v152, 0xb9fd, v119
	v_mul_f16_e32 v144, 0x2fb7, v119
	;; [unrolled: 1-line block ×5, first 2 shown]
	v_sub_f16_e32 v131, v161, v131
	v_add_f16_e32 v103, v103, v137
	v_add_f16_e32 v108, v135, v108
	;; [unrolled: 1-line block ×4, first 2 shown]
	v_sub_f16_e32 v115, v159, v115
	v_add_f16_e32 v109, v109, v158
	v_sub_f16_e32 v102, v157, v102
	v_add_f16_e32 v94, v94, v156
	v_add_f16_e32 v39, v55, v64
	;; [unrolled: 1-line block ×3, first 2 shown]
	v_sub_f16_e32 v38, v153, v70
	v_add_f16_e32 v25, v29, v25
	v_add_f16_e32 v35, v36, v35
	v_mul_f16_e32 v145, 0xbbc4, v124
	v_mul_f16_e32 v161, 0x3b15, v124
	v_sub_f16_e32 v129, v171, v129
	v_mul_f16_e32 v171, 0xb9fd, v124
	v_add_f16_e32 v131, v12, v131
	v_mul_f16_e32 v135, 0x388b, v124
	v_mul_f16_e32 v124, 0xb5ac, v124
	v_add_f16_e32 v103, v108, v103
	v_add_f16_e32 v108, v138, v119
	v_add_f16_sdwa v112, v12, v112 dst_sel:DWORD dst_unused:UNUSED_PAD src0_sel:WORD_1 src1_sel:DWORD
	v_add_f16_e32 v115, v12, v115
	v_add_f16_sdwa v109, v12, v109 dst_sel:DWORD dst_unused:UNUSED_PAD src0_sel:WORD_1 src1_sel:DWORD
	v_add_f16_e32 v106, v106, v168
	v_add_f16_e32 v102, v12, v102
	v_sub_f16_e32 v99, v167, v99
	v_add_f16_sdwa v94, v12, v94 dst_sel:DWORD dst_unused:UNUSED_PAD src0_sel:WORD_1 src1_sel:DWORD
	v_add_f16_e32 v93, v93, v166
	v_add_f16_sdwa v55, v12, v55 dst_sel:DWORD dst_unused:UNUSED_PAD src0_sel:WORD_1 src1_sel:DWORD
	v_add_f16_e32 v56, v71, v164
	v_add_f16_e32 v12, v12, v38
	v_sub_f16_e32 v22, v163, v22
	v_add_f16_e32 v21, v25, v21
	v_add_f16_e32 v25, v35, v34
	v_add_f16_e32 v103, v108, v103
	v_add_f16_e32 v108, v141, v124
	v_add_f16_e32 v123, v123, v170
	v_sub_f16_e32 v107, v169, v107
	v_add_f16_e32 v106, v106, v109
	v_add_f16_e32 v109, v110, v177
	;; [unrolled: 1-line block ×3, first 2 shown]
	v_sub_f16_e32 v101, v148, v101
	v_add_f16_e32 v93, v93, v94
	v_add_f16_e32 v94, v95, v176
	;; [unrolled: 1-line block ×5, first 2 shown]
	v_sub_f16_e32 v22, v173, v73
	v_add_f16_e32 v18, v21, v18
	v_add_f16_e32 v19, v25, v19
	v_add_f16_e32 v129, v129, v131
	v_sub_f16_e32 v132, v180, v132
	v_add_f16_e32 v103, v108, v103
	v_add_f16_e32 v108, v123, v112
	;; [unrolled: 1-line block ×4, first 2 shown]
	v_sub_f16_e32 v111, v178, v111
	v_add_f16_e32 v106, v109, v106
	v_add_f16_e32 v109, v113, v184
	;; [unrolled: 1-line block ×3, first 2 shown]
	v_sub_f16_e32 v100, v183, v100
	v_add_f16_e32 v93, v94, v93
	v_add_f16_e32 v94, v96, v147
	;; [unrolled: 1-line block ×5, first 2 shown]
	v_sub_f16_e32 v21, v149, v75
	v_add_f16_e32 v17, v18, v17
	v_add_f16_e32 v13, v19, v13
	v_mul_f16_e32 v105, 0xbbc4, v121
	v_mul_f16_e32 v139, 0x3b15, v121
	;; [unrolled: 1-line block ×3, first 2 shown]
	v_add_f16_e32 v119, v132, v129
	v_sub_f16_e32 v126, v143, v130
	v_add_f16_e32 v108, v112, v108
	v_add_f16_e32 v112, v122, v151
	v_add_f16_e32 v107, v111, v107
	v_sub_f16_e32 v91, v91, v116
	v_add_f16_e32 v106, v109, v106
	v_add_f16_e32 v90, v114, v90
	;; [unrolled: 4-line block ×3, first 2 shown]
	v_add_f16_e32 v22, v34, v29
	v_add_f16_e32 v18, v79, v152
	;; [unrolled: 1-line block ×3, first 2 shown]
	v_sub_f16_e32 v19, v150, v77
	v_add_f16_e32 v15, v17, v15
	v_add_f16_e32 v13, v13, v32
	v_mul_f16_e32 v137, 0x388b, v121
	v_mul_f16_e32 v131, 0xb5ac, v121
	v_add_f16_e32 v119, v126, v119
	v_sub_f16_e32 v124, v172, v133
	v_add_f16_e32 v108, v112, v108
	v_add_f16_e32 v112, v125, v162
	;; [unrolled: 1-line block ×3, first 2 shown]
	v_sub_f16_e32 v107, v146, v118
	v_add_f16_e32 v90, v90, v106
	v_add_f16_e32 v102, v117, v171
	;; [unrolled: 1-line block ×5, first 2 shown]
	v_sub_f16_e32 v83, v134, v88
	v_sub_f16_e32 v57, v139, v85
	v_add_f16_e32 v17, v18, v22
	v_add_f16_e32 v18, v80, v145
	;; [unrolled: 1-line block ×4, first 2 shown]
	v_mov_b32_e32 v16, 0x82
	v_add_f16_e32 v13, v13, v26
	v_sub_f16_e32 v19, v105, v78
	v_mul_f16_e32 v121, 0x2fb7, v121
	v_add_f16_e32 v119, v124, v119
	v_sub_f16_e32 v123, v131, v136
	v_add_f16_e32 v108, v112, v108
	v_add_f16_e32 v110, v128, v135
	;; [unrolled: 1-line block ×3, first 2 shown]
	v_sub_f16_e32 v107, v137, v120
	v_add_f16_e32 v90, v102, v90
	v_add_f16_e32 v58, v89, v87
	;; [unrolled: 1-line block ×4, first 2 shown]
	v_mul_u32_u24_sdwa v15, v53, v16 dst_sel:DWORD dst_unused:UNUSED_PAD src0_sel:WORD_0 src1_sel:DWORD
	v_add_f16_e32 v13, v13, v33
	v_add_f16_e32 v12, v19, v12
	;; [unrolled: 1-line block ×4, first 2 shown]
	v_sub_f16_e32 v121, v121, v140
	v_add_f16_e32 v108, v110, v108
	v_add_lshl_u32 v15, v15, v52, 2
	v_pack_b32_f16 v13, v14, v13
	v_pack_b32_f16 v12, v12, v17
	v_pack_b32_f16 v14, v16, v58
	v_pack_b32_f16 v16, v18, v90
	v_add_f16_e32 v17, v107, v91
	v_add_f16_e32 v18, v123, v119
	;; [unrolled: 1-line block ×3, first 2 shown]
	ds_write2_b32 v15, v13, v12 offset1:10
	ds_write2_b32 v15, v14, v16 offset0:20 offset1:30
	v_perm_b32 v16, v28, v27, 0x5040100
	v_pack_b32_f16 v12, v17, v108
	v_pack_b32_f16 v13, v18, v103
	;; [unrolled: 1-line block ×3, first 2 shown]
	v_perm_b32 v17, v69, v63, 0x5040100
	v_perm_b32 v18, v68, v62, 0x5040100
	;; [unrolled: 1-line block ×5, first 2 shown]
	ds_write2_b32 v15, v12, v13 offset0:40 offset1:50
	ds_write2_b32 v15, v14, v16 offset0:60 offset1:70
	;; [unrolled: 1-line block ×4, first 2 shown]
	ds_write_b32 v15, v22 offset:480
.LBB0_5:
	s_or_b32 exec_lo, exec_lo, s0
	s_waitcnt lgkmcnt(0)
	s_barrier
	buffer_gl0_inv
	ds_read_b32 v29, v51
	ds_read_b32 v39, v51 offset:1040
	ds_read_b32 v38, v51 offset:2080
	;; [unrolled: 1-line block ×6, first 2 shown]
	v_cmp_gt_u16_e64 s0, 0x4e, v48
                                        ; implicit-def: $vgpr32
                                        ; implicit-def: $vgpr33
	s_and_saveexec_b32 s1, s0
	s_cbranch_execz .LBB0_7
; %bb.6:
	ds_read_b32 v27, v51 offset:728
	ds_read_b32 v63, v51 offset:1768
	;; [unrolled: 1-line block ×7, first 2 shown]
	s_waitcnt lgkmcnt(6)
	v_lshrrev_b32_e32 v28, 16, v27
	s_waitcnt lgkmcnt(5)
	v_lshrrev_b32_e32 v69, 16, v63
	;; [unrolled: 2-line block ×7, first 2 shown]
.LBB0_7:
	s_or_b32 exec_lo, exec_lo, s1
	v_add_nc_u32_e32 v12, 0xffffff7e, v48
	v_cmp_gt_u16_e64 s1, 0x82, v48
	s_waitcnt lgkmcnt(5)
	v_lshrrev_b32_e32 v58, 16, v39
	s_waitcnt lgkmcnt(4)
	v_lshrrev_b32_e32 v64, 16, v38
	;; [unrolled: 2-line block ×4, first 2 shown]
	v_cndmask_b32_e64 v56, v12, v48, s1
	s_waitcnt lgkmcnt(0)
	v_lshrrev_b32_e32 v72, 16, v37
	v_mul_i32_i24_e32 v12, 24, v56
	v_mul_hi_i32_i24_e32 v13, 24, v56
	v_add_co_u32 v12, s1, s2, v12
	v_add_co_ci_u32_e64 v13, s1, s3, v13, s1
	s_clause 0x1
	global_load_dwordx4 v[16:19], v[12:13], off offset:480
	global_load_dwordx2 v[25:26], v[12:13], off offset:496
	v_add_nc_u32_e32 v12, 0xb6, v48
	v_mov_b32_e32 v13, 0xfc1
	v_mul_u32_u24_sdwa v13, v12, v13 dst_sel:DWORD dst_unused:UNUSED_PAD src0_sel:WORD_0 src1_sel:DWORD
	v_lshrrev_b32_e32 v13, 19, v13
	v_mul_lo_u16 v13, 0x82, v13
	v_sub_nc_u16 v55, v12, v13
	v_mul_lo_u16 v12, v55, 24
	v_and_b32_e32 v12, 0xffff, v12
	v_add_co_u32 v21, s1, s2, v12
	v_add_co_ci_u32_e64 v22, null, s3, 0, s1
	s_clause 0x1
	global_load_dwordx4 v[12:15], v[21:22], off offset:480
	global_load_dwordx2 v[21:22], v[21:22], off offset:496
	v_cmp_lt_u16_e64 s1, 0x81, v48
	s_waitcnt vmcnt(0)
	s_barrier
	buffer_gl0_inv
	v_cndmask_b32_e64 v57, 0, 0x38e, s1
	v_add_lshl_u32 v56, v56, v57, 2
	v_lshrrev_b32_e32 v57, 16, v36
	v_add_nc_u32_e32 v73, 0x400, v56
	v_add_nc_u32_e32 v74, 0x800, v56
	v_mul_f16_sdwa v75, v58, v16 dst_sel:DWORD dst_unused:UNUSED_PAD src0_sel:DWORD src1_sel:WORD_1
	v_mul_f16_sdwa v76, v39, v16 dst_sel:DWORD dst_unused:UNUSED_PAD src0_sel:DWORD src1_sel:WORD_1
	;; [unrolled: 1-line block ×12, first 2 shown]
	v_fma_f16 v39, v39, v16, -v75
	v_fmac_f16_e32 v76, v58, v16
	v_fma_f16 v38, v38, v17, -v77
	v_fmac_f16_e32 v78, v64, v17
	;; [unrolled: 2-line block ×3, first 2 shown]
	v_fma_f16 v35, v35, v19, -v81
	v_fma_f16 v37, v37, v26, -v85
	v_fmac_f16_e32 v86, v72, v26
	v_fmac_f16_e32 v82, v70, v19
	v_fma_f16 v34, v34, v25, -v83
	v_fmac_f16_e32 v84, v71, v25
	v_add_f16_e32 v57, v39, v37
	v_add_f16_e32 v58, v76, v86
	v_sub_f16_e32 v37, v39, v37
	v_sub_f16_e32 v39, v76, v86
	v_add_f16_e32 v64, v38, v34
	v_add_f16_e32 v70, v78, v84
	v_sub_f16_e32 v34, v38, v34
	v_sub_f16_e32 v38, v78, v84
	v_add_f16_e32 v71, v36, v35
	v_sub_f16_e32 v35, v35, v36
	v_sub_f16_e32 v36, v82, v80
	v_add_f16_e32 v72, v80, v82
	v_add_f16_e32 v75, v64, v57
	;; [unrolled: 1-line block ×5, first 2 shown]
	v_sub_f16_e32 v81, v35, v34
	v_sub_f16_e32 v82, v36, v38
	v_sub_f16_e32 v34, v34, v37
	v_sub_f16_e32 v38, v38, v39
	v_sub_f16_e32 v77, v64, v57
	v_sub_f16_e32 v78, v70, v58
	v_sub_f16_e32 v57, v57, v71
	v_sub_f16_e32 v58, v58, v72
	v_sub_f16_e32 v64, v71, v64
	v_sub_f16_e32 v70, v72, v70
	v_sub_f16_e32 v35, v37, v35
	v_sub_f16_e32 v36, v39, v36
	v_mul_f16_sdwa v83, v69, v12 dst_sel:DWORD dst_unused:UNUSED_PAD src0_sel:DWORD src1_sel:WORD_1
	v_mul_f16_sdwa v84, v63, v12 dst_sel:DWORD dst_unused:UNUSED_PAD src0_sel:DWORD src1_sel:WORD_1
	;; [unrolled: 1-line block ×8, first 2 shown]
	v_add_f16_e32 v71, v71, v75
	v_add_f16_e32 v72, v72, v76
	v_add_f16_e32 v37, v79, v37
	v_add_f16_e32 v39, v80, v39
	v_mul_f16_e32 v79, 0xb846, v81
	v_mul_f16_e32 v80, 0xb846, v82
	;; [unrolled: 1-line block ×4, first 2 shown]
	v_mul_f16_sdwa v87, v67, v14 dst_sel:DWORD dst_unused:UNUSED_PAD src0_sel:DWORD src1_sel:WORD_1
	v_mul_f16_sdwa v88, v59, v14 dst_sel:DWORD dst_unused:UNUSED_PAD src0_sel:DWORD src1_sel:WORD_1
	;; [unrolled: 1-line block ×4, first 2 shown]
	v_mul_f16_e32 v57, 0x3a52, v57
	v_mul_f16_e32 v58, 0x3a52, v58
	v_mul_f16_e32 v75, 0x2b26, v64
	v_mul_f16_e32 v76, 0x2b26, v70
	v_fma_f16 v63, v63, v12, -v83
	v_fmac_f16_e32 v84, v69, v12
	v_fma_f16 v62, v62, v13, -v85
	v_fmac_f16_e32 v86, v68, v13
	;; [unrolled: 2-line block ×4, first 2 shown]
	v_add_f16_e32 v33, v29, v71
	v_add_f16_sdwa v29, v29, v72 dst_sel:DWORD dst_unused:UNUSED_PAD src0_sel:WORD_1 src1_sel:DWORD
	v_fmamk_f16 v68, v35, 0x3574, v79
	v_fmamk_f16 v69, v36, 0x3574, v80
	v_fma_f16 v34, v34, 0x3b00, -v79
	v_fma_f16 v38, v38, 0x3b00, -v80
	;; [unrolled: 1-line block ×5, first 2 shown]
	v_fmac_f16_e32 v88, v67, v14
	v_fma_f16 v61, v61, v15, -v89
	v_fmac_f16_e32 v90, v66, v15
	v_fmamk_f16 v64, v64, 0x2b26, v57
	v_fmamk_f16 v65, v70, 0x2b26, v58
	v_fma_f16 v66, v77, 0x39e0, -v75
	v_fma_f16 v67, v78, 0x39e0, -v76
	v_fmamk_f16 v70, v71, 0xbcab, v33
	v_fmamk_f16 v71, v72, 0xbcab, v29
	v_fmac_f16_e32 v68, 0x370e, v37
	v_fmac_f16_e32 v69, 0x370e, v39
	;; [unrolled: 1-line block ×6, first 2 shown]
	v_add_f16_e32 v37, v63, v32
	v_add_f16_e32 v39, v84, v94
	;; [unrolled: 1-line block ×4, first 2 shown]
	v_fma_f16 v57, v77, 0xb9e0, -v57
	v_fma_f16 v58, v78, 0xb9e0, -v58
	v_sub_f16_e32 v32, v63, v32
	v_sub_f16_e32 v63, v84, v94
	;; [unrolled: 1-line block ×4, first 2 shown]
	v_add_f16_e32 v76, v59, v61
	v_add_f16_e32 v77, v88, v90
	v_sub_f16_e32 v59, v61, v59
	v_sub_f16_e32 v61, v90, v88
	v_pack_b32_f16 v78, v33, v29
	v_add_f16_e32 v29, v64, v70
	v_add_f16_e32 v33, v65, v71
	;; [unrolled: 1-line block ×8, first 2 shown]
	v_sub_f16_e32 v70, v72, v37
	v_sub_f16_e32 v71, v75, v39
	;; [unrolled: 1-line block ×6, first 2 shown]
	v_add_f16_e32 v79, v59, v60
	v_add_f16_e32 v80, v61, v62
	v_sub_f16_e32 v81, v59, v60
	v_sub_f16_e32 v82, v61, v62
	;; [unrolled: 1-line block ×4, first 2 shown]
	v_add_f16_e32 v66, v76, v66
	v_add_f16_e32 v67, v77, v67
	v_sub_f16_e32 v59, v32, v59
	v_sub_f16_e32 v61, v63, v61
	v_add_f16_e32 v83, v69, v29
	v_sub_f16_e32 v84, v33, v68
	v_add_f16_e32 v85, v36, v57
	v_sub_f16_e32 v86, v58, v35
	v_sub_f16_e32 v87, v64, v38
	v_add_f16_e32 v88, v34, v65
	v_add_f16_e32 v38, v38, v64
	v_sub_f16_e32 v64, v65, v34
	v_sub_f16_e32 v57, v57, v36
	v_add_f16_e32 v58, v35, v58
	v_sub_f16_e32 v65, v29, v69
	v_add_f16_e32 v68, v68, v33
	v_add_f16_e32 v69, v79, v32
	v_mul_f16_e32 v33, 0x3a52, v37
	v_mul_f16_e32 v34, 0x3a52, v39
	;; [unrolled: 1-line block ×8, first 2 shown]
	v_add_f16_e32 v29, v27, v66
	v_add_f16_e32 v32, v28, v67
	;; [unrolled: 1-line block ×3, first 2 shown]
	v_fmamk_f16 v27, v72, 0x2b26, v33
	v_fmamk_f16 v28, v75, 0x2b26, v34
	v_fma_f16 v72, v70, 0x39e0, -v35
	v_fma_f16 v75, v71, 0x39e0, -v36
	;; [unrolled: 1-line block ×4, first 2 shown]
	v_fmamk_f16 v33, v59, 0x3574, v37
	v_fmamk_f16 v34, v61, 0x3574, v39
	v_fma_f16 v60, v60, 0x3b00, -v37
	v_fma_f16 v62, v62, 0x3b00, -v39
	;; [unrolled: 1-line block ×4, first 2 shown]
	v_pack_b32_f16 v77, v38, v64
	v_pack_b32_f16 v58, v57, v58
	v_fmamk_f16 v38, v66, 0xbcab, v29
	v_fmamk_f16 v57, v67, 0xbcab, v32
	v_fmac_f16_e32 v33, 0x370e, v69
	v_fmac_f16_e32 v34, 0x370e, v63
	;; [unrolled: 1-line block ×6, first 2 shown]
	v_add_f16_e32 v37, v27, v38
	v_add_f16_e32 v63, v72, v38
	;; [unrolled: 1-line block ×6, first 2 shown]
	v_pack_b32_f16 v59, v83, v84
	v_pack_b32_f16 v68, v65, v68
	v_sub_f16_e32 v27, v63, v62
	v_add_f16_e32 v67, v60, v64
	v_add_f16_e32 v28, v62, v63
	v_sub_f16_e32 v66, v64, v60
	v_sub_f16_e32 v64, v38, v35
	v_add_f16_e32 v65, v36, v57
	v_sub_f16_e32 v62, v37, v34
	v_add_f16_e32 v63, v33, v39
	v_pack_b32_f16 v61, v85, v86
	v_pack_b32_f16 v76, v87, v88
	ds_write2_b32 v56, v78, v59 offset1:130
	ds_write2_b32 v73, v61, v76 offset0:4 offset1:134
	ds_write2_b32 v74, v77, v58 offset0:8 offset1:138
	ds_write_b32 v56, v68 offset:3120
	s_and_saveexec_b32 s1, s0
	s_cbranch_execz .LBB0_9
; %bb.8:
	v_mov_b32_e32 v58, 2
	v_sub_f16_e32 v36, v57, v36
	v_sub_f16_e32 v33, v39, v33
	v_add_f16_e32 v34, v34, v37
	v_add_f16_e32 v35, v35, v38
	v_lshlrev_b32_sdwa v37, v58, v55 dst_sel:DWORD dst_unused:UNUSED_PAD src0_sel:DWORD src1_sel:WORD_0
	v_perm_b32 v29, v32, v29, 0x5040100
	v_perm_b32 v32, v67, v27, 0x5040100
	v_pack_b32_f16 v33, v34, v33
	v_pack_b32_f16 v34, v35, v36
	v_add_nc_u32_e32 v35, 0xe00, v37
	v_add_nc_u32_e32 v36, 0x1200, v37
	v_perm_b32 v38, v66, v28, 0x5040100
	v_perm_b32 v39, v65, v64, 0x5040100
	v_add_nc_u32_e32 v57, 0x1600, v37
	v_perm_b32 v58, v63, v62, 0x5040100
	ds_write2_b32 v35, v29, v33 offset0:14 offset1:144
	ds_write2_b32 v36, v34, v32 offset0:18 offset1:148
	;; [unrolled: 1-line block ×3, first 2 shown]
	ds_write_b32 v37, v58 offset:6760
.LBB0_9:
	s_or_b32 exec_lo, exec_lo, s1
	v_add_co_u32 v29, s1, s2, v51
	v_add_co_ci_u32_e64 v36, null, s3, 0, s1
	s_waitcnt lgkmcnt(0)
	v_add_co_u32 v32, s1, 0x800, v29
	v_add_co_ci_u32_e64 v33, s1, 0, v36, s1
	v_add_co_u32 v34, s1, 0x1000, v29
	v_add_co_ci_u32_e64 v35, s1, 0, v36, s1
	s_barrier
	buffer_gl0_inv
	s_clause 0x1
	global_load_dword v57, v[32:33], off offset:1552
	global_load_dword v58, v[34:35], off offset:232
	v_add_co_u32 v32, s1, 0x1800, v29
	v_add_co_ci_u32_e64 v33, s1, 0, v36, s1
	s_clause 0x2
	global_load_dword v60, v[34:35], off offset:960
	global_load_dword v59, v[34:35], off offset:1688
	;; [unrolled: 1-line block ×3, first 2 shown]
	v_add_nc_u32_e32 v73, 0xb00, v51
	v_add_nc_u32_e32 v68, 0x1000, v51
	;; [unrolled: 1-line block ×4, first 2 shown]
	ds_read2_b32 v[32:33], v51 offset1:182
	ds_read2_b32 v[34:35], v73 offset0:24 offset1:206
	ds_read2_b32 v[36:37], v68 offset0:68 offset1:250
	;; [unrolled: 1-line block ×4, first 2 shown]
	v_add_co_u32 v71, s1, 0x1c70, v30
	v_add_co_ci_u32_e64 v72, s1, 0, v31, s1
	s_waitcnt lgkmcnt(3)
	v_lshrrev_b32_e32 v77, 16, v35
	s_waitcnt lgkmcnt(2)
	v_lshrrev_b32_e32 v78, 16, v36
	v_lshrrev_b32_e32 v80, 16, v37
	s_waitcnt lgkmcnt(0)
	v_lshrrev_b32_e32 v82, 16, v69
	v_lshrrev_b32_e32 v84, 16, v70
	;; [unrolled: 1-line block ×7, first 2 shown]
	s_waitcnt vmcnt(4)
	v_mul_f16_sdwa v85, v77, v57 dst_sel:DWORD dst_unused:UNUSED_PAD src0_sel:DWORD src1_sel:WORD_1
	v_mul_f16_sdwa v86, v35, v57 dst_sel:DWORD dst_unused:UNUSED_PAD src0_sel:DWORD src1_sel:WORD_1
	s_waitcnt vmcnt(3)
	v_mul_f16_sdwa v87, v78, v58 dst_sel:DWORD dst_unused:UNUSED_PAD src0_sel:DWORD src1_sel:WORD_1
	v_mul_f16_sdwa v88, v36, v58 dst_sel:DWORD dst_unused:UNUSED_PAD src0_sel:DWORD src1_sel:WORD_1
	;; [unrolled: 3-line block ×5, first 2 shown]
	v_fma_f16 v35, v35, v57, -v85
	v_fmac_f16_e32 v86, v77, v57
	v_fma_f16 v36, v36, v58, -v87
	v_fmac_f16_e32 v88, v78, v58
	;; [unrolled: 2-line block ×5, first 2 shown]
	v_sub_f16_e32 v35, v32, v35
	v_sub_f16_e32 v77, v29, v86
	v_sub_f16_e32 v36, v33, v36
	v_sub_f16_e32 v78, v76, v88
	v_sub_f16_e32 v37, v38, v37
	v_sub_f16_e32 v80, v79, v90
	v_sub_f16_e32 v69, v39, v69
	v_sub_f16_e32 v82, v81, v92
	v_sub_f16_e32 v70, v34, v70
	v_sub_f16_e32 v84, v83, v94
	v_fma_f16 v32, v32, 2.0, -v35
	v_fma_f16 v29, v29, 2.0, -v77
	;; [unrolled: 1-line block ×10, first 2 shown]
	v_pack_b32_f16 v35, v35, v77
	v_pack_b32_f16 v29, v32, v29
	;; [unrolled: 1-line block ×10, first 2 shown]
	ds_write_b32 v51, v35 offset:3640
	ds_write2_b32 v51, v29, v32 offset1:182
	ds_write2_b32 v68, v36, v37 offset0:68 offset1:250
	ds_write2_b32 v74, v33, v38 offset0:44 offset1:226
	ds_write_b32 v51, v34 offset:2912
	ds_write2_b32 v75, v69, v70 offset0:48 offset1:230
	s_waitcnt lgkmcnt(0)
	s_barrier
	buffer_gl0_inv
	s_clause 0x1
	global_load_dword v29, v[23:24], off offset:1136
	global_load_dword v34, v[71:72], off offset:728
	v_add_co_u32 v23, s1, 0x2000, v30
	v_add_co_ci_u32_e64 v24, s1, 0, v31, s1
	v_add_co_u32 v32, s1, 0x2800, v30
	v_add_co_ci_u32_e64 v33, s1, 0, v31, s1
	s_clause 0x2
	global_load_dword v35, v[71:72], off offset:1456
	global_load_dword v36, v[23:24], off offset:1272
	;; [unrolled: 1-line block ×3, first 2 shown]
	v_add_co_u32 v23, s1, 0x3000, v30
	v_add_co_ci_u32_e64 v24, s1, 0, v31, s1
	s_clause 0x4
	global_load_dword v38, v[32:33], off offset:680
	global_load_dword v39, v[32:33], off offset:1408
	;; [unrolled: 1-line block ×5, first 2 shown]
	ds_read2_b32 v[23:24], v51 offset1:182
	s_waitcnt lgkmcnt(0)
	v_lshrrev_b32_e32 v30, 16, v23
	v_lshrrev_b32_e32 v31, 16, v24
	s_waitcnt vmcnt(9)
	v_mul_f16_sdwa v32, v30, v29 dst_sel:DWORD dst_unused:UNUSED_PAD src0_sel:DWORD src1_sel:WORD_1
	v_mul_f16_sdwa v33, v23, v29 dst_sel:DWORD dst_unused:UNUSED_PAD src0_sel:DWORD src1_sel:WORD_1
	s_waitcnt vmcnt(8)
	v_mul_f16_sdwa v72, v31, v34 dst_sel:DWORD dst_unused:UNUSED_PAD src0_sel:DWORD src1_sel:WORD_1
	v_mul_f16_sdwa v76, v24, v34 dst_sel:DWORD dst_unused:UNUSED_PAD src0_sel:DWORD src1_sel:WORD_1
	v_fma_f16 v23, v23, v29, -v32
	v_fmac_f16_e32 v33, v30, v29
	v_fma_f16 v24, v24, v34, -v72
	v_fmac_f16_e32 v76, v31, v34
	v_pack_b32_f16 v23, v23, v33
	v_pack_b32_f16 v24, v24, v76
	ds_write2_b32 v51, v23, v24 offset1:182
	ds_read2_b32 v[23:24], v74 offset0:44 offset1:226
	ds_read2_b32 v[29:30], v73 offset0:24 offset1:206
	;; [unrolled: 1-line block ×4, first 2 shown]
	s_waitcnt lgkmcnt(3)
	v_lshrrev_b32_e32 v72, 16, v23
	s_waitcnt vmcnt(7)
	v_mul_f16_sdwa v76, v23, v35 dst_sel:DWORD dst_unused:UNUSED_PAD src0_sel:DWORD src1_sel:WORD_1
	v_lshrrev_b32_e32 v77, 16, v24
	s_waitcnt vmcnt(6)
	v_mul_f16_sdwa v78, v24, v36 dst_sel:DWORD dst_unused:UNUSED_PAD src0_sel:DWORD src1_sel:WORD_1
	s_waitcnt lgkmcnt(2)
	v_lshrrev_b32_e32 v79, 16, v29
	s_waitcnt vmcnt(5)
	v_mul_f16_sdwa v80, v29, v37 dst_sel:DWORD dst_unused:UNUSED_PAD src0_sel:DWORD src1_sel:WORD_1
	v_lshrrev_b32_e32 v81, 16, v30
	s_waitcnt vmcnt(4)
	v_mul_f16_sdwa v82, v30, v38 dst_sel:DWORD dst_unused:UNUSED_PAD src0_sel:DWORD src1_sel:WORD_1
	;; [unrolled: 7-line block ×3, first 2 shown]
	s_waitcnt lgkmcnt(0)
	v_lshrrev_b32_e32 v87, 16, v33
	s_waitcnt vmcnt(1)
	v_mul_f16_sdwa v88, v33, v70 dst_sel:DWORD dst_unused:UNUSED_PAD src0_sel:DWORD src1_sel:WORD_1
	v_lshrrev_b32_e32 v89, 16, v34
	v_mul_f16_sdwa v91, v72, v35 dst_sel:DWORD dst_unused:UNUSED_PAD src0_sel:DWORD src1_sel:WORD_1
	v_fmac_f16_e32 v76, v72, v35
	v_mul_f16_sdwa v72, v77, v36 dst_sel:DWORD dst_unused:UNUSED_PAD src0_sel:DWORD src1_sel:WORD_1
	v_fmac_f16_e32 v78, v77, v36
	;; [unrolled: 2-line block ×5, first 2 shown]
	v_mul_f16_sdwa v83, v85, v69 dst_sel:DWORD dst_unused:UNUSED_PAD src0_sel:DWORD src1_sel:WORD_1
	s_waitcnt vmcnt(0)
	v_mul_f16_sdwa v90, v34, v71 dst_sel:DWORD dst_unused:UNUSED_PAD src0_sel:DWORD src1_sel:WORD_1
	v_fmac_f16_e32 v86, v85, v69
	v_mul_f16_sdwa v85, v87, v70 dst_sel:DWORD dst_unused:UNUSED_PAD src0_sel:DWORD src1_sel:WORD_1
	v_fmac_f16_e32 v88, v87, v70
	v_mul_f16_sdwa v87, v89, v71 dst_sel:DWORD dst_unused:UNUSED_PAD src0_sel:DWORD src1_sel:WORD_1
	v_fma_f16 v23, v23, v35, -v91
	v_fma_f16 v24, v24, v36, -v72
	;; [unrolled: 1-line block ×6, first 2 shown]
	v_fmac_f16_e32 v90, v89, v71
	v_fma_f16 v33, v33, v70, -v85
	v_fma_f16 v34, v34, v71, -v87
	v_pack_b32_f16 v23, v23, v76
	v_pack_b32_f16 v24, v24, v78
	;; [unrolled: 1-line block ×8, first 2 shown]
	ds_write2_b32 v74, v23, v24 offset0:44 offset1:226
	ds_write2_b32 v73, v29, v30 offset0:24 offset1:206
	;; [unrolled: 1-line block ×4, first 2 shown]
	s_waitcnt lgkmcnt(0)
	s_barrier
	buffer_gl0_inv
	ds_read2_b32 v[23:24], v74 offset0:44 offset1:226
	ds_read2_b32 v[29:30], v73 offset0:24 offset1:206
	;; [unrolled: 1-line block ×4, first 2 shown]
	ds_read2_b32 v[35:36], v51 offset1:182
	s_waitcnt lgkmcnt(0)
	s_barrier
	buffer_gl0_inv
	v_sub_f16_e32 v70, v23, v29
	v_add_f16_e32 v37, v29, v31
	v_sub_f16_e32 v69, v33, v31
	v_add_f16_e32 v71, v23, v33
	v_pk_add_f16 v74, v35, v23
	v_add_f16_e32 v83, v30, v32
	v_pk_add_f16 v91, v36, v24
	v_add_f16_sdwa v92, v30, v32 dst_sel:DWORD dst_unused:UNUSED_PAD src0_sel:WORD_1 src1_sel:WORD_1
	v_lshrrev_b32_e32 v93, 16, v36
	v_add_f16_sdwa v98, v24, v34 dst_sel:DWORD dst_unused:UNUSED_PAD src0_sel:WORD_1 src1_sel:WORD_1
	v_sub_f16_sdwa v38, v23, v33 dst_sel:DWORD dst_unused:UNUSED_PAD src0_sel:WORD_1 src1_sel:WORD_1
	v_sub_f16_sdwa v39, v29, v31 dst_sel:DWORD dst_unused:UNUSED_PAD src0_sel:WORD_1 src1_sel:WORD_1
	v_sub_f16_e32 v72, v31, v33
	v_sub_f16_e32 v73, v29, v23
	v_add_f16_sdwa v75, v29, v31 dst_sel:DWORD dst_unused:UNUSED_PAD src0_sel:WORD_1 src1_sel:WORD_1
	v_lshrrev_b32_e32 v77, 16, v35
	v_sub_f16_e32 v76, v23, v33
	v_sub_f16_e32 v78, v29, v31
	v_sub_f16_sdwa v79, v23, v29 dst_sel:DWORD dst_unused:UNUSED_PAD src0_sel:WORD_1 src1_sel:WORD_1
	v_add_f16_sdwa v81, v23, v33 dst_sel:DWORD dst_unused:UNUSED_PAD src0_sel:WORD_1 src1_sel:WORD_1
	v_sub_f16_sdwa v23, v29, v23 dst_sel:DWORD dst_unused:UNUSED_PAD src0_sel:WORD_1 src1_sel:WORD_1
	v_sub_f16_sdwa v82, v31, v33 dst_sel:DWORD dst_unused:UNUSED_PAD src0_sel:WORD_1 src1_sel:WORD_1
	;; [unrolled: 1-line block ×4, first 2 shown]
	v_sub_f16_e32 v86, v34, v32
	v_sub_f16_e32 v87, v24, v30
	v_add_f16_e32 v88, v24, v34
	v_sub_f16_e32 v90, v30, v24
	v_sub_f16_e32 v94, v24, v34
	v_sub_f16_e32 v95, v30, v32
	v_sub_f16_sdwa v96, v24, v30 dst_sel:DWORD dst_unused:UNUSED_PAD src0_sel:WORD_1 src1_sel:WORD_1
	v_sub_f16_sdwa v24, v30, v24 dst_sel:DWORD dst_unused:UNUSED_PAD src0_sel:WORD_1 src1_sel:WORD_1
	v_fma_f16 v100, -0.5, v37, v35
	v_add_f16_e32 v37, v70, v69
	v_fma_f16 v69, -0.5, v71, v35
	v_pk_add_f16 v29, v74, v29
	v_fma_f16 v71, -0.5, v83, v36
	v_pk_add_f16 v30, v91, v30
	v_fma_f16 v74, -0.5, v92, v93
	v_fmac_f16_e32 v93, -0.5, v98
	v_sub_f16_e32 v89, v32, v34
	v_sub_f16_sdwa v97, v34, v32 dst_sel:DWORD dst_unused:UNUSED_PAD src0_sel:WORD_1 src1_sel:WORD_1
	v_sub_f16_sdwa v99, v32, v34 dst_sel:DWORD dst_unused:UNUSED_PAD src0_sel:WORD_1 src1_sel:WORD_1
	v_add_f16_e32 v35, v73, v72
	v_fma_f16 v101, -0.5, v75, v77
	v_fmac_f16_e32 v77, -0.5, v81
	v_add_f16_e32 v23, v23, v82
	v_add_f16_e32 v72, v87, v86
	v_fma_f16 v36, -0.5, v88, v36
	v_fmamk_f16 v82, v84, 0xbb9c, v71
	v_pk_add_f16 v30, v30, v32
	v_fmamk_f16 v32, v94, 0x3b9c, v74
	v_fmamk_f16 v86, v95, 0xbb9c, v93
	v_fmac_f16_e32 v93, 0x3b9c, v95
	v_fmac_f16_e32 v74, 0xbb9c, v94
	v_sub_f16_sdwa v80, v33, v31 dst_sel:DWORD dst_unused:UNUSED_PAD src0_sel:WORD_1 src1_sel:WORD_1
	v_add_f16_e32 v75, v96, v97
	v_add_f16_e32 v24, v24, v99
	v_pk_add_f16 v29, v29, v31
	v_fmamk_f16 v31, v76, 0x3b9c, v101
	v_fmac_f16_e32 v101, 0xbb9c, v76
	v_fmamk_f16 v81, v78, 0xbb9c, v77
	v_fmac_f16_e32 v77, 0x3b9c, v78
	;; [unrolled: 2-line block ×3, first 2 shown]
	v_fmac_f16_e32 v82, 0xb8b4, v85
	v_fmac_f16_e32 v32, 0x38b4, v95
	;; [unrolled: 1-line block ×6, first 2 shown]
	v_add_f16_e32 v70, v79, v80
	v_add_f16_e32 v73, v90, v89
	v_fmamk_f16 v79, v38, 0xbb9c, v100
	v_fmac_f16_e32 v100, 0x3b9c, v38
	v_fmamk_f16 v80, v39, 0x3b9c, v69
	v_fmac_f16_e32 v69, 0xbb9c, v39
	v_pk_add_f16 v29, v29, v33
	v_fmac_f16_e32 v31, 0x38b4, v78
	v_fmac_f16_e32 v101, 0xb8b4, v78
	v_fmac_f16_e32 v81, 0x38b4, v76
	v_fmac_f16_e32 v77, 0xb8b4, v76
	v_fmac_f16_e32 v83, 0xb8b4, v84
	v_fmac_f16_e32 v36, 0x38b4, v84
	v_pk_add_f16 v30, v30, v34
	v_fmac_f16_e32 v82, 0x34f2, v72
	v_fmac_f16_e32 v32, 0x34f2, v75
	;; [unrolled: 1-line block ×16, first 2 shown]
	v_pk_add_f16 v23, v29, v30
	v_pk_add_f16 v39, v29, v30 neg_lo:[0,1] neg_hi:[0,1]
	v_mul_f16_e32 v24, 0xb8b4, v32
	v_mul_f16_e32 v29, 0xbb9c, v86
	v_mul_f16_e32 v30, 0xbb9c, v93
	v_mul_f16_e32 v70, 0x38b4, v82
	v_mul_f16_e32 v78, 0x34f2, v86
	v_mul_f16_e32 v84, 0xb4f2, v93
	v_fmac_f16_e32 v71, 0x34f2, v72
	v_mul_f16_e32 v38, 0xb8b4, v74
	v_mul_f16_e32 v85, 0xba79, v74
	v_fmac_f16_e32 v79, 0x34f2, v37
	v_fmac_f16_e32 v80, 0x34f2, v35
	v_fmac_f16_e32 v69, 0x34f2, v35
	v_fmac_f16_e32 v24, 0x3a79, v82
	v_fmac_f16_e32 v29, 0x34f2, v83
	v_fmac_f16_e32 v30, 0xb4f2, v36
	v_fmac_f16_e32 v70, 0x3a79, v32
	v_fmac_f16_e32 v78, 0x3b9c, v83
	v_fmac_f16_e32 v84, 0x3b9c, v36
	v_fmac_f16_e32 v100, 0x34f2, v37
	v_fmac_f16_e32 v38, 0xba79, v71
	v_fmac_f16_e32 v85, 0x38b4, v71
	v_add_f16_e32 v32, v79, v24
	v_add_f16_e32 v35, v80, v29
	;; [unrolled: 1-line block ×8, first 2 shown]
	v_sub_f16_e32 v33, v79, v24
	v_sub_f16_e32 v34, v80, v29
	;; [unrolled: 1-line block ×8, first 2 shown]
	v_pack_b32_f16 v78, v36, v75
	v_pack_b32_f16 v77, v35, v76
	;; [unrolled: 1-line block ×8, first 2 shown]
	ds_write2_b64 v54, v[23:24], v[77:78] offset1:1
	ds_write2_b64 v54, v[38:39], v[79:80] offset0:2 offset1:3
	ds_write_b64 v54, v[81:82] offset:32
	s_waitcnt lgkmcnt(0)
	s_barrier
	buffer_gl0_inv
	s_and_saveexec_b32 s1, vcc_lo
	s_cbranch_execz .LBB0_11
; %bb.10:
	v_add_nc_u32_e32 v23, 0x400, v51
	v_add_nc_u32_e32 v24, 0x800, v51
	;; [unrolled: 1-line block ×3, first 2 shown]
	ds_read2_b32 v[31:32], v51 offset1:140
	ds_read2_b32 v[29:30], v68 offset0:96 offset1:236
	ds_read_b32 v64, v51 offset:6720
	ds_read2_b32 v[35:36], v23 offset0:24 offset1:164
	v_add_nc_u32_e32 v23, 0x1500, v51
	ds_read2_b32 v[37:38], v24 offset0:48 offset1:188
	ds_read2_b32 v[33:34], v27 offset0:72 offset1:212
	;; [unrolled: 1-line block ×3, first 2 shown]
	s_waitcnt lgkmcnt(6)
	v_lshrrev_b32_e32 v72, 16, v32
	s_waitcnt lgkmcnt(5)
	v_lshrrev_b32_e32 v70, 16, v29
	v_lshrrev_b32_e32 v69, 16, v30
	s_waitcnt lgkmcnt(4)
	v_lshrrev_b32_e32 v65, 16, v64
	v_mov_b32_e32 v23, v31
	s_waitcnt lgkmcnt(3)
	v_lshrrev_b32_e32 v76, 16, v35
	v_lshrrev_b32_e32 v75, 16, v36
	s_waitcnt lgkmcnt(2)
	v_lshrrev_b32_e32 v73, 16, v37
	s_waitcnt lgkmcnt(1)
	v_lshrrev_b32_e32 v74, 16, v33
	v_lshrrev_b32_e32 v71, 16, v34
	s_waitcnt lgkmcnt(0)
	v_lshrrev_b32_e32 v67, 16, v27
	v_lshrrev_b32_e32 v66, 16, v28
	v_mov_b32_e32 v39, v38
.LBB0_11:
	s_or_b32 exec_lo, exec_lo, s1
	v_mul_f16_sdwa v38, v4, v72 dst_sel:DWORD dst_unused:UNUSED_PAD src0_sel:WORD_1 src1_sel:DWORD
	v_mul_f16_sdwa v31, v4, v32 dst_sel:DWORD dst_unused:UNUSED_PAD src0_sel:WORD_1 src1_sel:DWORD
	;; [unrolled: 1-line block ×5, first 2 shown]
	v_fmac_f16_e32 v38, v4, v32
	v_fma_f16 v32, v4, v72, -v31
	v_mul_f16_sdwa v4, v6, v75 dst_sel:DWORD dst_unused:UNUSED_PAD src0_sel:WORD_1 src1_sel:DWORD
	v_mul_f16_sdwa v31, v7, v73 dst_sel:DWORD dst_unused:UNUSED_PAD src0_sel:WORD_1 src1_sel:DWORD
	v_lshrrev_b32_e32 v72, 16, v39
	v_fmac_f16_e32 v24, v5, v35
	v_fma_f16 v35, v5, v76, -v54
	v_fmac_f16_e32 v4, v6, v36
	v_fma_f16 v36, v6, v75, -v68
	v_fmac_f16_e32 v31, v7, v37
	v_mul_f16_sdwa v37, v7, v37 dst_sel:DWORD dst_unused:UNUSED_PAD src0_sel:WORD_1 src1_sel:DWORD
	v_mul_f16_sdwa v5, v8, v72 dst_sel:DWORD dst_unused:UNUSED_PAD src0_sel:WORD_1 src1_sel:DWORD
	v_mul_f16_sdwa v6, v9, v74 dst_sel:DWORD dst_unused:UNUSED_PAD src0_sel:WORD_1 src1_sel:DWORD
	v_mul_f16_sdwa v75, v9, v33 dst_sel:DWORD dst_unused:UNUSED_PAD src0_sel:WORD_1 src1_sel:DWORD
	v_mul_f16_sdwa v68, v8, v39 dst_sel:DWORD dst_unused:UNUSED_PAD src0_sel:WORD_1 src1_sel:DWORD
	v_fma_f16 v54, v7, v73, -v37
	v_fmac_f16_e32 v5, v8, v39
	v_fmac_f16_e32 v6, v9, v33
	v_fma_f16 v33, v9, v74, -v75
	v_mul_f16_sdwa v7, v10, v71 dst_sel:DWORD dst_unused:UNUSED_PAD src0_sel:WORD_1 src1_sel:DWORD
	v_mul_f16_sdwa v39, v10, v34 dst_sel:DWORD dst_unused:UNUSED_PAD src0_sel:WORD_1 src1_sel:DWORD
	v_mul_f16_sdwa v9, v0, v69 dst_sel:DWORD dst_unused:UNUSED_PAD src0_sel:WORD_1 src1_sel:DWORD
	v_fma_f16 v37, v8, v72, -v68
	v_mul_f16_sdwa v8, v11, v70 dst_sel:DWORD dst_unused:UNUSED_PAD src0_sel:WORD_1 src1_sel:DWORD
	v_mul_f16_sdwa v68, v11, v29 dst_sel:DWORD dst_unused:UNUSED_PAD src0_sel:WORD_1 src1_sel:DWORD
	v_fmac_f16_e32 v7, v10, v34
	v_fma_f16 v34, v10, v71, -v39
	v_fmac_f16_e32 v9, v0, v30
	v_mul_f16_sdwa v39, v0, v30 dst_sel:DWORD dst_unused:UNUSED_PAD src0_sel:WORD_1 src1_sel:DWORD
	v_mul_f16_sdwa v30, v1, v67 dst_sel:DWORD dst_unused:UNUSED_PAD src0_sel:WORD_1 src1_sel:DWORD
	v_fmac_f16_e32 v8, v11, v29
	v_fma_f16 v10, v11, v70, -v68
	v_mul_f16_sdwa v29, v3, v64 dst_sel:DWORD dst_unused:UNUSED_PAD src0_sel:WORD_1 src1_sel:DWORD
	v_mul_f16_sdwa v68, v1, v27 dst_sel:DWORD dst_unused:UNUSED_PAD src0_sel:WORD_1 src1_sel:DWORD
	v_fmac_f16_e32 v30, v1, v27
	v_mul_f16_sdwa v27, v2, v66 dst_sel:DWORD dst_unused:UNUSED_PAD src0_sel:WORD_1 src1_sel:DWORD
	v_mul_f16_sdwa v11, v3, v65 dst_sel:DWORD dst_unused:UNUSED_PAD src0_sel:WORD_1 src1_sel:DWORD
	v_fma_f16 v29, v3, v65, -v29
	v_fma_f16 v39, v0, v69, -v39
	v_sub_f16_e32 v136, v4, v30
	v_fmac_f16_e32 v27, v2, v28
	v_mul_f16_sdwa v28, v2, v28 dst_sel:DWORD dst_unused:UNUSED_PAD src0_sel:WORD_1 src1_sel:DWORD
	v_fmac_f16_e32 v11, v3, v64
	v_fma_f16 v3, v1, v67, -v68
	v_sub_f16_e32 v0, v32, v29
	v_add_f16_e32 v1, v29, v32
	v_fma_f16 v66, v2, v66, -v28
	v_add_f16_e32 v112, v11, v38
	v_sub_f16_e32 v113, v38, v11
	v_mul_f16_e32 v70, 0xb770, v0
	v_mul_f16_e32 v72, 0x3b15, v1
	;; [unrolled: 1-line block ×7, first 2 shown]
	v_sub_f16_e32 v1, v35, v66
	v_fma_f16 v64, v112, 0x3b15, -v70
	v_add_f16_e32 v127, v27, v24
	v_add_f16_e32 v79, v66, v35
	v_fmamk_f16 v76, v113, 0xb3a8, v110
	v_mul_f16_e32 v75, 0xba95, v1
	v_mul_f16_e32 v77, 0xba95, v0
	v_fmamk_f16 v65, v113, 0xb770, v72
	v_add_f16_e32 v2, v23, v64
	v_add_f16_sdwa v85, v23, v76 dst_sel:DWORD dst_unused:UNUSED_PAD src0_sel:WORD_1 src1_sel:DWORD
	v_fma_f16 v80, v127, 0x388b, -v75
	v_sub_f16_e32 v128, v24, v27
	v_mul_f16_e32 v76, 0x388b, v79
	v_fma_f16 v67, v112, 0x388b, -v77
	v_add_f16_sdwa v28, v23, v65 dst_sel:DWORD dst_unused:UNUSED_PAD src0_sel:WORD_1 src1_sel:DWORD
	v_mul_f16_e32 v86, 0xbb7b, v0
	v_fmamk_f16 v68, v113, 0xbbf1, v83
	v_mul_f16_e32 v94, 0xb94e, v0
	v_mul_f16_e32 v82, 0xbb7b, v1
	v_add_f16_e32 v2, v80, v2
	v_fmamk_f16 v80, v128, 0xba95, v76
	v_mul_f16_e32 v92, 0xbbc4, v79
	v_add_f16_e32 v65, v23, v67
	v_fma_f16 v69, v112, 0xb5ac, -v86
	v_fmamk_f16 v71, v113, 0xbb7b, v89
	v_add_f16_sdwa v68, v23, v68 dst_sel:DWORD dst_unused:UNUSED_PAD src0_sel:WORD_1 src1_sel:DWORD
	v_fma_f16 v73, v112, 0xb9fd, -v94
	v_mul_f16_e32 v102, 0xb3a8, v0
	v_fma_f16 v87, v127, 0xb5ac, -v82
	v_add_f16_e32 v28, v80, v28
	v_fmamk_f16 v80, v128, 0xb3a8, v92
	v_mul_f16_e32 v93, 0x394e, v1
	v_mul_f16_e32 v100, 0xb9fd, v79
	v_fmamk_f16 v64, v113, 0xba95, v78
	v_mul_f16_e32 v81, 0xbbf1, v0
	v_add_f16_e32 v69, v23, v69
	v_add_f16_sdwa v71, v23, v71 dst_sel:DWORD dst_unused:UNUSED_PAD src0_sel:WORD_1 src1_sel:DWORD
	v_add_f16_e32 v0, v23, v73
	v_fmamk_f16 v73, v113, 0xb94e, v99
	v_fma_f16 v74, v112, 0xbbc4, -v102
	v_mul_f16_e32 v84, 0xb5ac, v79
	v_add_f16_e32 v65, v87, v65
	v_add_f16_e32 v68, v80, v68
	v_mul_f16_e32 v111, 0x2fb7, v79
	v_fma_f16 v80, v127, 0xb9fd, -v93
	v_fmamk_f16 v87, v128, 0x394e, v100
	v_mul_f16_e32 v115, 0x3770, v1
	v_add_f16_sdwa v64, v23, v64 dst_sel:DWORD dst_unused:UNUSED_PAD src0_sel:WORD_1 src1_sel:DWORD
	v_add_f16_sdwa v73, v23, v73 dst_sel:DWORD dst_unused:UNUSED_PAD src0_sel:WORD_1 src1_sel:DWORD
	v_add_f16_e32 v74, v23, v74
	v_mul_f16_e32 v88, 0xb3a8, v1
	v_fmamk_f16 v90, v128, 0xbb7b, v84
	v_mul_f16_e32 v108, 0x3bf1, v1
	v_fmamk_f16 v1, v128, 0x3bf1, v111
	v_add_f16_e32 v69, v80, v69
	v_add_f16_e32 v71, v87, v71
	v_fma_f16 v80, v127, 0x3b15, -v115
	v_add_f16_e32 v87, v3, v36
	v_add_f16_e32 v64, v90, v64
	v_fma_f16 v90, v127, 0x2fb7, -v108
	v_add_f16_e32 v1, v1, v73
	v_mul_f16_e32 v126, 0x3b15, v79
	v_sub_f16_e32 v73, v36, v3
	v_add_f16_e32 v74, v80, v74
	v_mul_f16_e32 v80, 0x2fb7, v87
	v_fma_f16 v67, v112, 0x2fb7, -v81
	v_add_f16_e32 v0, v90, v0
	v_add_f16_e32 v135, v30, v4
	v_mul_f16_e32 v79, 0xbbf1, v73
	v_fmamk_f16 v95, v128, 0x3770, v126
	v_mul_f16_e32 v90, 0xb3a8, v73
	v_fmamk_f16 v97, v136, 0xbbf1, v80
	v_add_f16_e32 v67, v23, v67
	v_fma_f16 v91, v127, 0xbbc4, -v88
	v_fma_f16 v96, v135, 0x2fb7, -v79
	v_add_f16_e32 v95, v95, v85
	v_fma_f16 v85, v135, 0xbbc4, -v90
	v_add_f16_e32 v28, v97, v28
	v_mul_f16_e32 v97, 0x3b7b, v73
	v_mul_f16_e32 v103, 0xb5ac, v87
	v_add_f16_e32 v67, v91, v67
	v_add_f16_e32 v2, v96, v2
	;; [unrolled: 1-line block ×3, first 2 shown]
	v_fma_f16 v85, v135, 0xb5ac, -v97
	v_mul_f16_e32 v114, 0x3b15, v87
	v_fmamk_f16 v96, v136, 0x3b7b, v103
	v_mul_f16_e32 v91, 0xbbc4, v87
	v_mul_f16_e32 v120, 0xba95, v73
	v_add_f16_e32 v67, v85, v67
	v_fmamk_f16 v85, v136, 0x3770, v114
	v_add_f16_e32 v68, v96, v68
	v_mul_f16_e32 v125, 0x388b, v87
	v_sub_f16_e32 v96, v54, v39
	v_fmamk_f16 v98, v136, 0xb3a8, v91
	v_mul_f16_e32 v105, 0x3770, v73
	v_fma_f16 v101, v135, 0x388b, -v120
	v_add_f16_e32 v71, v85, v71
	v_mul_f16_e32 v130, 0xb94e, v73
	v_fmamk_f16 v73, v136, 0xba95, v125
	v_add_f16_e32 v142, v9, v31
	v_mul_f16_e32 v85, 0xbb7b, v96
	v_add_f16_e32 v64, v98, v64
	v_fma_f16 v98, v135, 0x3b15, -v105
	v_add_f16_e32 v0, v101, v0
	v_mul_f16_e32 v139, 0xb9fd, v87
	v_fma_f16 v87, v135, 0xb9fd, -v130
	v_add_f16_e32 v1, v73, v1
	v_add_f16_e32 v73, v39, v54
	v_fma_f16 v101, v142, 0xb5ac, -v85
	v_add_f16_e32 v69, v98, v69
	v_fmamk_f16 v98, v136, 0xb94e, v139
	v_add_f16_e32 v74, v87, v74
	v_sub_f16_e32 v144, v31, v9
	v_mul_f16_e32 v87, 0xb5ac, v73
	v_add_f16_e32 v2, v101, v2
	v_mul_f16_e32 v101, 0xb9fd, v73
	v_add_f16_e32 v106, v98, v95
	v_mul_f16_e32 v107, 0x3770, v96
	v_fmamk_f16 v98, v144, 0xbb7b, v87
	v_mul_f16_e32 v137, 0x3a95, v96
	v_fmamk_f16 v109, v144, 0x394e, v101
	v_mul_f16_e32 v117, 0x3b15, v73
	v_mul_f16_e32 v119, 0xbbf1, v96
	v_add_f16_e32 v28, v98, v28
	v_fma_f16 v98, v142, 0x3b15, -v107
	v_add_f16_e32 v64, v109, v64
	v_mul_f16_e32 v124, 0x2fb7, v73
	v_fma_f16 v109, v142, 0x388b, -v137
	v_mul_f16_e32 v95, 0x394e, v96
	v_fmamk_f16 v116, v144, 0x3770, v117
	v_add_f16_e32 v67, v98, v67
	v_mul_f16_e32 v132, 0x33a8, v96
	v_fma_f16 v98, v142, 0x2fb7, -v119
	v_mul_f16_e32 v134, 0xbbc4, v73
	v_fmamk_f16 v96, v144, 0xbbf1, v124
	v_mul_f16_e32 v146, 0x388b, v73
	v_add_f16_e32 v73, v109, v74
	v_sub_f16_e32 v74, v37, v10
	v_add_f16_e32 v109, v10, v37
	v_fma_f16 v104, v142, 0xb9fd, -v95
	v_add_f16_e32 v68, v116, v68
	v_add_f16_e32 v69, v98, v69
	v_fmamk_f16 v98, v144, 0x33a8, v134
	v_add_f16_e32 v71, v96, v71
	v_fmamk_f16 v118, v144, 0x3a95, v146
	v_add_f16_e32 v149, v8, v5
	v_sub_f16_e32 v150, v5, v8
	v_mul_f16_e32 v96, 0xb94e, v74
	v_mul_f16_e32 v116, 0x2fb7, v109
	v_add_f16_e32 v65, v104, v65
	v_fma_f16 v104, v142, 0xbbc4, -v132
	v_add_f16_e32 v1, v98, v1
	v_mul_f16_e32 v98, 0xb9fd, v109
	v_add_f16_e32 v118, v118, v106
	v_fma_f16 v106, v149, 0xb9fd, -v96
	v_fmamk_f16 v129, v150, 0x3bf1, v116
	v_mul_f16_e32 v121, 0xba95, v74
	v_add_f16_e32 v0, v104, v0
	v_mul_f16_e32 v104, 0x3bf1, v74
	v_fmamk_f16 v122, v150, 0xb94e, v98
	v_add_f16_e32 v2, v106, v2
	v_add_f16_e32 v64, v129, v64
	v_fma_f16 v106, v149, 0x388b, -v121
	v_mul_f16_e32 v129, 0x388b, v109
	v_mul_f16_e32 v131, 0x33a8, v74
	v_fma_f16 v123, v149, 0x2fb7, -v104
	v_add_f16_e32 v28, v122, v28
	v_mul_f16_e32 v133, 0xbbc4, v109
	v_mul_f16_e32 v141, 0x3770, v74
	v_add_f16_e32 v67, v106, v67
	v_fmamk_f16 v106, v150, 0xba95, v129
	v_fma_f16 v122, v149, 0xbbc4, -v131
	v_mul_f16_e32 v143, 0x3b15, v109
	v_sub_f16_e32 v152, v33, v34
	v_mul_f16_e32 v147, 0xbb7b, v74
	v_add_f16_e32 v74, v34, v33
	v_mul_f16_e32 v153, 0xb5ac, v109
	v_add_f16_e32 v65, v123, v65
	v_fmamk_f16 v123, v150, 0x33a8, v133
	v_add_f16_e32 v145, v106, v68
	v_add_f16_e32 v148, v122, v69
	v_fmamk_f16 v68, v150, 0x3770, v143
	v_add_f16_e32 v155, v7, v6
	v_mul_f16_e32 v106, 0xb3a8, v152
	v_sub_f16_e32 v154, v6, v7
	v_mul_f16_e32 v109, 0xbbc4, v74
	v_fmamk_f16 v122, v150, 0xbb7b, v153
	v_fma_f16 v138, v149, 0x3b15, -v141
	v_add_f16_e32 v71, v123, v71
	v_fma_f16 v123, v155, 0xbbc4, -v106
	v_add_f16_e32 v157, v68, v1
	v_fmamk_f16 v68, v154, 0xb3a8, v109
	v_add_f16_e32 v159, v122, v118
	v_mul_f16_e32 v118, 0x3770, v152
	v_add_f16_e32 v0, v138, v0
	v_fma_f16 v69, v149, 0xb5ac, -v147
	v_add_f16_e32 v1, v123, v2
	v_add_f16_e32 v2, v68, v28
	v_mul_f16_e32 v122, 0x3b15, v74
	v_mul_f16_e32 v123, 0xb94e, v152
	v_mul_f16_e32 v138, 0xb9fd, v74
	v_fma_f16 v28, v155, 0x3b15, -v118
	v_mul_f16_e32 v140, 0x3a95, v152
	v_add_f16_e32 v158, v69, v73
	v_fmamk_f16 v68, v154, 0x3770, v122
	v_fma_f16 v69, v155, 0xb9fd, -v123
	v_fmamk_f16 v73, v154, 0xb94e, v138
	v_add_f16_e32 v28, v28, v65
	v_fma_f16 v65, v155, 0x388b, -v140
	v_add_f16_e32 v68, v68, v64
	v_add_f16_e32 v64, v69, v67
	;; [unrolled: 1-line block ×3, first 2 shown]
	v_mul_f16_e32 v145, 0x388b, v74
	v_add_f16_e32 v65, v65, v148
	v_mul_f16_e32 v148, 0xbb7b, v152
	v_mul_f16_e32 v151, 0xb5ac, v74
	;; [unrolled: 1-line block ×4, first 2 shown]
	v_fmamk_f16 v67, v154, 0x3a95, v145
	v_fma_f16 v74, v155, 0xb5ac, -v148
	v_fmamk_f16 v160, v154, 0xbb7b, v151
	v_fma_f16 v161, v155, 0x2fb7, -v152
	v_fmamk_f16 v162, v154, 0x3bf1, v156
	v_add_f16_e32 v73, v67, v71
	v_add_f16_e32 v71, v74, v0
	;; [unrolled: 1-line block ×5, first 2 shown]
	s_barrier
	buffer_gl0_inv
	s_and_saveexec_b32 s1, vcc_lo
	s_cbranch_execz .LBB0_13
; %bb.12:
	v_mul_f16_e32 v159, 0x388b, v112
	v_mul_f16_e32 v169, 0xb5ac, v127
	v_add_f16_e32 v38, v23, v38
	v_add_f16_sdwa v32, v32, v23 dst_sel:DWORD dst_unused:UNUSED_PAD src0_sel:DWORD src1_sel:WORD_1
	v_mul_f16_e32 v179, 0xbbc4, v135
	v_add_f16_e32 v77, v159, v77
	v_add_f16_e32 v82, v169, v82
	;; [unrolled: 1-line block ×4, first 2 shown]
	v_mul_f16_e32 v189, 0xb9fd, v142
	v_add_f16_e32 v77, v23, v77
	v_mul_f16_e32 v158, 0xb770, v113
	v_add_f16_e32 v4, v4, v24
	v_add_f16_e32 v32, v36, v32
	v_mul_f16_e32 v160, 0xba95, v113
	v_add_f16_e32 v77, v82, v77
	v_add_f16_e32 v82, v179, v90
	v_mul_f16_e32 v162, 0xbbf1, v113
	v_mul_f16_e32 v164, 0xbb7b, v113
	;; [unrolled: 1-line block ×5, first 2 shown]
	v_add_f16_e32 v77, v82, v77
	v_add_f16_e32 v82, v189, v95
	v_add_f16_e32 v4, v31, v4
	v_add_f16_e32 v32, v54, v32
	v_mul_f16_e32 v168, 0xba95, v128
	v_mul_f16_e32 v170, 0xbb7b, v128
	;; [unrolled: 1-line block ×6, first 2 shown]
	v_sub_f16_e32 v110, v110, v113
	v_mul_f16_e32 v157, 0x3b15, v112
	v_mul_f16_e32 v161, 0x2fb7, v112
	v_mul_f16_e32 v163, 0xb5ac, v112
	v_mul_f16_e32 v165, 0xb9fd, v112
	v_mul_f16_e32 v112, 0xbbc4, v112
	v_add_f16_e32 v38, v82, v77
	v_add_f16_e32 v35, v199, v104
	;; [unrolled: 1-line block ×4, first 2 shown]
	v_mul_f16_e32 v178, 0xbbf1, v136
	v_mul_f16_e32 v180, 0xb3a8, v136
	;; [unrolled: 1-line block ×6, first 2 shown]
	v_add_f16_sdwa v110, v23, v110 dst_sel:DWORD dst_unused:UNUSED_PAD src0_sel:WORD_1 src1_sel:DWORD
	v_sub_f16_e32 v126, v126, v128
	v_mul_f16_e32 v167, 0x388b, v127
	v_mul_f16_e32 v171, 0xbbc4, v127
	v_add_f16_e32 v102, v112, v102
	v_sub_f16_e32 v99, v99, v166
	v_add_f16_e32 v94, v165, v94
	v_sub_f16_e32 v89, v89, v164
	;; [unrolled: 2-line block ×5, first 2 shown]
	v_add_f16_e32 v38, v157, v70
	v_add_f16_e32 v4, v6, v4
	;; [unrolled: 1-line block ×3, first 2 shown]
	v_mul_f16_e32 v188, 0xbb7b, v144
	v_mul_f16_e32 v190, 0x394e, v144
	;; [unrolled: 1-line block ×6, first 2 shown]
	v_add_f16_e32 v110, v126, v110
	v_sub_f16_e32 v126, v139, v136
	v_mul_f16_e32 v173, 0xb9fd, v127
	v_mul_f16_e32 v175, 0x2fb7, v127
	;; [unrolled: 1-line block ×4, first 2 shown]
	v_add_f16_e32 v102, v23, v102
	v_add_f16_sdwa v99, v23, v99 dst_sel:DWORD dst_unused:UNUSED_PAD src0_sel:WORD_1 src1_sel:DWORD
	v_add_f16_e32 v94, v23, v94
	v_add_f16_sdwa v89, v23, v89 dst_sel:DWORD dst_unused:UNUSED_PAD src0_sel:WORD_1 src1_sel:DWORD
	;; [unrolled: 2-line block ×3, first 2 shown]
	v_sub_f16_e32 v92, v92, v172
	v_add_f16_e32 v81, v23, v81
	v_add_f16_e32 v88, v171, v88
	v_add_f16_sdwa v78, v23, v78 dst_sel:DWORD dst_unused:UNUSED_PAD src0_sel:WORD_1 src1_sel:DWORD
	v_sub_f16_e32 v84, v84, v170
	v_add_f16_sdwa v36, v23, v36 dst_sel:DWORD dst_unused:UNUSED_PAD src0_sel:WORD_1 src1_sel:DWORD
	v_sub_f16_e32 v5, v76, v168
	v_add_f16_e32 v23, v23, v38
	v_add_f16_e32 v37, v167, v75
	v_add_f16_e32 v4, v7, v4
	v_add_f16_e32 v6, v34, v6
	v_mul_f16_e32 v127, 0x3b15, v127
	v_mul_f16_e32 v198, 0xb94e, v150
	;; [unrolled: 1-line block ×7, first 2 shown]
	v_add_f16_e32 v110, v126, v110
	v_sub_f16_e32 v126, v146, v144
	v_mul_f16_e32 v183, 0x3b15, v135
	v_mul_f16_e32 v185, 0x388b, v135
	;; [unrolled: 1-line block ×4, first 2 shown]
	v_sub_f16_e32 v111, v111, v176
	v_add_f16_e32 v108, v175, v108
	v_sub_f16_e32 v100, v100, v174
	v_add_f16_e32 v93, v173, v93
	v_add_f16_e32 v83, v92, v83
	v_sub_f16_e32 v92, v103, v182
	v_add_f16_e32 v81, v88, v81
	v_add_f16_e32 v88, v181, v97
	;; [unrolled: 1-line block ×3, first 2 shown]
	v_sub_f16_e32 v84, v91, v180
	v_add_f16_e32 v5, v5, v36
	v_sub_f16_e32 v32, v80, v178
	v_add_f16_e32 v23, v37, v23
	v_add_f16_e32 v7, v177, v79
	;; [unrolled: 1-line block ×4, first 2 shown]
	v_mul_f16_e32 v135, 0xb9fd, v135
	v_add_f16_e32 v110, v126, v110
	v_sub_f16_e32 v112, v153, v150
	v_mul_f16_e32 v126, 0x3bf1, v154
	v_add_f16_e32 v115, v127, v115
	v_mul_f16_e32 v193, 0x2fb7, v142
	v_mul_f16_e32 v195, 0xbbc4, v142
	;; [unrolled: 1-line block ×4, first 2 shown]
	v_add_f16_e32 v99, v111, v99
	v_sub_f16_e32 v111, v125, v186
	v_add_f16_e32 v94, v108, v94
	v_add_f16_e32 v108, v185, v120
	v_add_f16_e32 v89, v100, v89
	v_sub_f16_e32 v100, v114, v184
	v_add_f16_e32 v86, v93, v86
	v_add_f16_e32 v93, v183, v105
	;; [unrolled: 4-line block ×3, first 2 shown]
	v_add_f16_e32 v78, v84, v78
	v_sub_f16_e32 v84, v101, v190
	v_add_f16_e32 v5, v32, v5
	v_sub_f16_e32 v32, v87, v188
	v_add_f16_e32 v7, v7, v23
	v_add_f16_e32 v8, v187, v85
	v_add_f16_e32 v4, v9, v4
	v_add_f16_e32 v6, v39, v6
	v_mul_f16_e32 v142, 0x388b, v142
	v_add_f16_e32 v110, v112, v110
	v_sub_f16_e32 v112, v156, v126
	v_add_f16_e32 v102, v115, v102
	v_add_f16_e32 v115, v135, v130
	v_mul_f16_e32 v203, 0xbbc4, v149
	v_mul_f16_e32 v113, 0x3b15, v149
	;; [unrolled: 1-line block ×8, first 2 shown]
	v_add_f16_e32 v99, v111, v99
	v_sub_f16_e32 v111, v134, v196
	v_add_f16_e32 v94, v108, v94
	v_add_f16_e32 v108, v195, v132
	v_add_f16_e32 v89, v100, v89
	v_sub_f16_e32 v100, v124, v194
	v_add_f16_e32 v86, v93, v86
	v_add_f16_e32 v93, v193, v119
	;; [unrolled: 4-line block ×3, first 2 shown]
	v_add_f16_e32 v78, v84, v78
	v_sub_f16_e32 v84, v116, v200
	v_add_f16_e32 v5, v32, v5
	v_sub_f16_e32 v9, v98, v198
	v_add_f16_e32 v7, v8, v7
	v_add_f16_e32 v8, v197, v96
	;; [unrolled: 1-line block ×4, first 2 shown]
	v_mul_f16_e32 v149, 0xb5ac, v149
	v_add_f16_e32 v110, v112, v110
	v_add_f16_e32 v102, v115, v102
	;; [unrolled: 1-line block ×3, first 2 shown]
	v_mul_f16_e32 v209, 0x388b, v155
	v_mul_f16_e32 v210, 0x3a95, v154
	;; [unrolled: 1-line block ×4, first 2 shown]
	v_add_f16_e32 v99, v111, v99
	v_sub_f16_e32 v111, v143, v205
	v_add_f16_e32 v94, v108, v94
	v_add_f16_e32 v108, v113, v141
	v_add_f16_e32 v89, v100, v89
	v_sub_f16_e32 v100, v133, v204
	v_add_f16_e32 v86, v93, v86
	v_add_f16_e32 v93, v203, v131
	;; [unrolled: 4-line block ×3, first 2 shown]
	v_sub_f16_e32 v84, v122, v208
	v_add_f16_e32 v77, v136, v123
	v_add_f16_e32 v31, v207, v118
	;; [unrolled: 1-line block ×3, first 2 shown]
	v_sub_f16_e32 v6, v109, v206
	v_add_f16_e32 v7, v8, v7
	v_add_f16_e32 v4, v27, v4
	v_mov_b32_e32 v8, 0x82
	v_add_f16_e32 v3, v66, v3
	v_add_f16_e32 v9, v128, v106
	v_mul_f16_e32 v155, 0x2fb7, v155
	v_add_f16_e32 v102, v112, v102
	v_add_f16_e32 v112, v149, v147
	;; [unrolled: 1-line block ×3, first 2 shown]
	v_sub_f16_e32 v111, v151, v146
	v_add_f16_e32 v94, v108, v94
	v_add_f16_e32 v108, v144, v148
	;; [unrolled: 1-line block ×3, first 2 shown]
	v_sub_f16_e32 v100, v145, v210
	v_add_f16_e32 v86, v93, v86
	v_add_f16_e32 v93, v209, v140
	;; [unrolled: 1-line block ×6, first 2 shown]
	v_mul_u32_u24_sdwa v6, v53, v8 dst_sel:DWORD dst_unused:UNUSED_PAD src0_sel:WORD_0 src1_sel:DWORD
	v_add_f16_e32 v3, v29, v3
	v_add_f16_e32 v7, v9, v7
	;; [unrolled: 1-line block ×8, first 2 shown]
	v_add_lshl_u32 v6, v6, v52, 2
	v_pack_b32_f16 v3, v4, v3
	v_pack_b32_f16 v4, v7, v5
	;; [unrolled: 1-line block ×4, first 2 shown]
	v_add_f16_e32 v8, v93, v86
	v_add_f16_e32 v9, v108, v94
	;; [unrolled: 1-line block ×3, first 2 shown]
	ds_write2_b32 v6, v3, v4 offset1:10
	ds_write2_b32 v6, v5, v7 offset0:20 offset1:30
	v_perm_b32 v7, v67, v0, 0x5040100
	v_pack_b32_f16 v3, v8, v89
	v_pack_b32_f16 v4, v9, v99
	;; [unrolled: 1-line block ×3, first 2 shown]
	v_perm_b32 v8, v74, v71, 0x5040100
	v_perm_b32 v9, v73, v65, 0x5040100
	;; [unrolled: 1-line block ×5, first 2 shown]
	ds_write2_b32 v6, v3, v4 offset0:40 offset1:50
	ds_write2_b32 v6, v5, v7 offset0:60 offset1:70
	;; [unrolled: 1-line block ×4, first 2 shown]
	ds_write_b32 v6, v23 offset:480
.LBB0_13:
	s_or_b32 exec_lo, exec_lo, s1
	s_waitcnt lgkmcnt(0)
	s_barrier
	buffer_gl0_inv
	ds_read_b32 v3, v51
	ds_read_b32 v9, v51 offset:1040
	ds_read_b32 v8, v51 offset:2080
	ds_read_b32 v7, v51 offset:3120
	ds_read_b32 v6, v51 offset:4160
	ds_read_b32 v4, v51 offset:5200
	ds_read_b32 v5, v51 offset:6240
	s_and_saveexec_b32 s1, s0
	s_cbranch_execz .LBB0_15
; %bb.14:
	ds_read_b32 v0, v51 offset:728
	ds_read_b32 v71, v51 offset:1768
	;; [unrolled: 1-line block ×7, first 2 shown]
	s_waitcnt lgkmcnt(6)
	v_lshrrev_b32_e32 v67, 16, v0
	s_waitcnt lgkmcnt(5)
	v_lshrrev_b32_e32 v74, 16, v71
	;; [unrolled: 2-line block ×7, first 2 shown]
.LBB0_15:
	s_or_b32 exec_lo, exec_lo, s1
	s_waitcnt lgkmcnt(5)
	v_lshrrev_b32_e32 v10, 16, v9
	s_waitcnt lgkmcnt(4)
	v_lshrrev_b32_e32 v11, 16, v8
	s_waitcnt lgkmcnt(3)
	v_lshrrev_b32_e32 v23, 16, v7
	v_mul_f16_sdwa v24, v16, v9 dst_sel:DWORD dst_unused:UNUSED_PAD src0_sel:WORD_1 src1_sel:DWORD
	s_waitcnt lgkmcnt(2)
	v_lshrrev_b32_e32 v27, 16, v6
	v_mul_f16_sdwa v29, v16, v10 dst_sel:DWORD dst_unused:UNUSED_PAD src0_sel:WORD_1 src1_sel:DWORD
	s_waitcnt lgkmcnt(1)
	v_lshrrev_b32_e32 v30, 16, v4
	s_waitcnt lgkmcnt(0)
	v_lshrrev_b32_e32 v31, 16, v5
	v_fma_f16 v10, v16, v10, -v24
	v_mul_f16_sdwa v24, v17, v11 dst_sel:DWORD dst_unused:UNUSED_PAD src0_sel:WORD_1 src1_sel:DWORD
	v_fmac_f16_e32 v29, v16, v9
	v_mul_f16_sdwa v9, v17, v8 dst_sel:DWORD dst_unused:UNUSED_PAD src0_sel:WORD_1 src1_sel:DWORD
	v_mul_f16_sdwa v16, v18, v23 dst_sel:DWORD dst_unused:UNUSED_PAD src0_sel:WORD_1 src1_sel:DWORD
	;; [unrolled: 1-line block ×4, first 2 shown]
	v_fmac_f16_e32 v24, v17, v8
	v_fma_f16 v8, v17, v11, -v9
	v_fmac_f16_e32 v16, v18, v7
	v_fma_f16 v7, v18, v23, -v32
	v_mul_f16_sdwa v9, v26, v31 dst_sel:DWORD dst_unused:UNUSED_PAD src0_sel:WORD_1 src1_sel:DWORD
	v_mul_f16_sdwa v11, v26, v5 dst_sel:DWORD dst_unused:UNUSED_PAD src0_sel:WORD_1 src1_sel:DWORD
	;; [unrolled: 1-line block ×4, first 2 shown]
	v_fmac_f16_e32 v33, v19, v6
	v_mul_f16_sdwa v6, v19, v6 dst_sel:DWORD dst_unused:UNUSED_PAD src0_sel:WORD_1 src1_sel:DWORD
	v_fmac_f16_e32 v9, v26, v5
	v_fma_f16 v5, v26, v31, -v11
	v_fmac_f16_e32 v17, v25, v4
	v_fma_f16 v4, v25, v30, -v18
	v_fma_f16 v6, v19, v27, -v6
	v_add_f16_e32 v11, v29, v9
	v_add_f16_e32 v18, v10, v5
	v_sub_f16_e32 v5, v10, v5
	v_add_f16_e32 v10, v24, v17
	v_add_f16_e32 v19, v8, v4
	v_sub_f16_e32 v17, v24, v17
	v_sub_f16_e32 v4, v8, v4
	v_add_f16_e32 v8, v16, v33
	v_add_f16_e32 v23, v7, v6
	v_sub_f16_e32 v16, v33, v16
	;; [unrolled: 4-line block ×3, first 2 shown]
	v_sub_f16_e32 v25, v10, v11
	v_sub_f16_e32 v26, v19, v18
	;; [unrolled: 1-line block ×6, first 2 shown]
	v_add_f16_e32 v27, v16, v17
	v_add_f16_e32 v29, v6, v4
	v_sub_f16_e32 v30, v16, v17
	v_sub_f16_e32 v31, v6, v4
	v_add_f16_e32 v7, v8, v7
	v_add_f16_e32 v8, v23, v24
	v_sub_f16_e32 v17, v17, v9
	v_sub_f16_e32 v4, v4, v5
	;; [unrolled: 1-line block ×4, first 2 shown]
	v_add_f16_e32 v9, v27, v9
	v_add_f16_e32 v5, v29, v5
	;; [unrolled: 1-line block ×3, first 2 shown]
	v_add_f16_sdwa v3, v3, v8 dst_sel:DWORD dst_unused:UNUSED_PAD src0_sel:WORD_1 src1_sel:DWORD
	v_mul_f16_e32 v11, 0x3a52, v11
	v_mul_f16_e32 v18, 0x3a52, v18
	v_mul_f16_e32 v24, 0x2b26, v10
	v_mul_f16_e32 v27, 0x2b26, v19
	v_mul_f16_e32 v29, 0x3846, v30
	v_mul_f16_e32 v30, 0x3846, v31
	v_mul_f16_e32 v31, 0xbb00, v17
	v_mul_f16_e32 v32, 0xbb00, v4
	v_fmamk_f16 v7, v7, 0xbcab, v23
	v_fmamk_f16 v8, v8, 0xbcab, v3
	;; [unrolled: 1-line block ×4, first 2 shown]
	v_fma_f16 v24, v25, 0x39e0, -v24
	v_fma_f16 v27, v26, 0x39e0, -v27
	;; [unrolled: 1-line block ×4, first 2 shown]
	v_fmamk_f16 v25, v16, 0xb574, v29
	v_fmamk_f16 v26, v6, 0xb574, v30
	v_fma_f16 v17, v17, 0xbb00, -v29
	v_fma_f16 v4, v4, 0xbb00, -v30
	;; [unrolled: 1-line block ×4, first 2 shown]
	v_add_f16_e32 v10, v10, v7
	v_add_f16_e32 v19, v19, v8
	v_fmac_f16_e32 v25, 0xb70e, v9
	v_fmac_f16_e32 v26, 0xb70e, v5
	v_add_f16_e32 v24, v24, v7
	v_add_f16_e32 v27, v27, v8
	;; [unrolled: 1-line block ×4, first 2 shown]
	v_fmac_f16_e32 v17, 0xb70e, v9
	v_fmac_f16_e32 v6, 0xb70e, v5
	;; [unrolled: 1-line block ×4, first 2 shown]
	v_add_f16_e32 v5, v26, v10
	v_sub_f16_e32 v9, v19, v25
	v_add_f16_e32 v11, v6, v7
	v_sub_f16_e32 v18, v8, v16
	v_sub_f16_e32 v29, v24, v4
	v_add_f16_e32 v30, v17, v27
	v_add_f16_e32 v4, v4, v24
	v_sub_f16_e32 v17, v27, v17
	v_sub_f16_e32 v6, v7, v6
	v_add_f16_e32 v7, v16, v8
	v_sub_f16_e32 v8, v10, v26
	v_add_f16_e32 v10, v25, v19
	v_pack_b32_f16 v3, v23, v3
	v_pack_b32_f16 v5, v5, v9
	;; [unrolled: 1-line block ×4, first 2 shown]
	v_add_nc_u32_e32 v16, 0x400, v56
	v_pack_b32_f16 v4, v4, v17
	v_pack_b32_f16 v6, v6, v7
	v_add_nc_u32_e32 v7, 0x800, v56
	v_pack_b32_f16 v8, v8, v10
	s_barrier
	buffer_gl0_inv
	ds_write2_b32 v56, v3, v5 offset1:130
	ds_write2_b32 v16, v9, v11 offset0:4 offset1:134
	ds_write2_b32 v7, v4, v6 offset0:8 offset1:138
	ds_write_b32 v56, v8 offset:3120
	s_and_saveexec_b32 s1, s0
	s_cbranch_execz .LBB0_17
; %bb.16:
	v_mul_f16_sdwa v7, v21, v2 dst_sel:DWORD dst_unused:UNUSED_PAD src0_sel:WORD_1 src1_sel:DWORD
	v_mul_f16_sdwa v8, v22, v63 dst_sel:DWORD dst_unused:UNUSED_PAD src0_sel:WORD_1 src1_sel:DWORD
	;; [unrolled: 1-line block ×5, first 2 shown]
	v_fmac_f16_e32 v7, v21, v1
	v_fmac_f16_e32 v8, v22, v62
	v_fma_f16 v11, v22, v63, -v11
	v_mul_f16_sdwa v1, v21, v1 dst_sel:DWORD dst_unused:UNUSED_PAD src0_sel:WORD_1 src1_sel:DWORD
	v_mul_f16_sdwa v22, v13, v65 dst_sel:DWORD dst_unused:UNUSED_PAD src0_sel:WORD_1 src1_sel:DWORD
	;; [unrolled: 1-line block ×5, first 2 shown]
	v_fmac_f16_e32 v3, v12, v71
	v_fma_f16 v12, v12, v74, -v18
	v_mul_f16_sdwa v18, v14, v64 dst_sel:DWORD dst_unused:UNUSED_PAD src0_sel:WORD_1 src1_sel:DWORD
	v_mul_f16_sdwa v23, v15, v28 dst_sel:DWORD dst_unused:UNUSED_PAD src0_sel:WORD_1 src1_sel:DWORD
	v_fma_f16 v1, v21, v2, -v1
	v_fma_f16 v2, v13, v73, -v22
	v_fmac_f16_e32 v4, v15, v28
	v_fmac_f16_e32 v5, v14, v64
	;; [unrolled: 1-line block ×3, first 2 shown]
	v_add_f16_e32 v13, v11, v12
	v_fma_f16 v14, v14, v69, -v18
	v_fma_f16 v15, v15, v68, -v23
	v_add_f16_e32 v18, v1, v2
	v_sub_f16_e32 v10, v6, v7
	v_sub_f16_e32 v16, v3, v8
	v_add_f16_e32 v3, v8, v3
	v_add_f16_e32 v22, v14, v15
	v_add_f16_e32 v23, v18, v13
	v_add_f16_e32 v6, v7, v6
	v_sub_f16_e32 v9, v4, v5
	v_add_f16_e32 v4, v5, v4
	v_sub_f16_e32 v24, v13, v22
	v_add_f16_e32 v23, v22, v23
	;; [unrolled: 2-line block ×3, first 2 shown]
	v_sub_f16_e32 v14, v15, v14
	v_sub_f16_e32 v1, v2, v1
	v_sub_f16_e32 v25, v3, v4
	v_sub_f16_e32 v11, v12, v11
	v_sub_f16_e32 v17, v9, v10
	v_sub_f16_e32 v19, v16, v9
	v_add_f16_e32 v9, v9, v10
	v_add_f16_e32 v22, v4, v22
	v_sub_f16_e32 v12, v14, v1
	v_sub_f16_e32 v10, v10, v16
	v_mul_f16_e32 v2, 0x3a52, v25
	v_sub_f16_e32 v4, v4, v6
	v_sub_f16_e32 v25, v11, v14
	v_add_f16_e32 v14, v14, v1
	v_sub_f16_e32 v1, v1, v11
	v_mul_f16_e32 v17, 0x3846, v17
	v_mul_f16_e32 v8, 0x3a52, v24
	v_add_f16_e32 v5, v67, v23
	v_mul_f16_e32 v24, 0x2b26, v7
	v_add_f16_e32 v0, v0, v22
	v_mul_f16_e32 v12, 0x3846, v12
	v_mul_f16_e32 v27, 0xbb00, v10
	v_sub_f16_e32 v13, v18, v13
	v_fmamk_f16 v15, v4, 0x2b26, v2
	v_mul_f16_e32 v4, 0x2b26, v4
	v_sub_f16_e32 v3, v6, v3
	v_add_f16_e32 v6, v14, v11
	v_mul_f16_e32 v14, 0xbb00, v1
	v_fmamk_f16 v21, v19, 0xb574, v17
	v_add_f16_e32 v9, v9, v16
	v_fmamk_f16 v7, v7, 0x2b26, v8
	v_fmamk_f16 v23, v23, 0xbcab, v5
	;; [unrolled: 1-line block ×4, first 2 shown]
	v_fma_f16 v11, v19, 0x3574, -v27
	v_fma_f16 v8, v13, 0xb9e0, -v8
	v_fma_f16 v13, v13, 0x39e0, -v24
	v_fma_f16 v10, v10, 0xbb00, -v17
	v_fma_f16 v2, v3, 0xb9e0, -v2
	v_fma_f16 v14, v25, 0x3574, -v14
	v_fma_f16 v1, v1, 0xbb00, -v12
	v_fma_f16 v3, v3, 0x39e0, -v4
	v_fmac_f16_e32 v21, 0xb70e, v9
	v_add_f16_e32 v7, v7, v23
	v_add_f16_e32 v15, v15, v22
	v_fmac_f16_e32 v16, 0xb70e, v6
	v_fmac_f16_e32 v11, 0xb70e, v9
	v_add_f16_e32 v8, v8, v23
	v_add_f16_e32 v4, v13, v23
	v_fmac_f16_e32 v10, 0xb70e, v9
	v_mov_b32_e32 v18, 2
	v_add_f16_e32 v2, v2, v22
	v_fmac_f16_e32 v14, 0xb70e, v6
	v_fmac_f16_e32 v1, 0xb70e, v6
	v_add_f16_e32 v3, v3, v22
	v_add_f16_e32 v26, v21, v7
	;; [unrolled: 1-line block ×3, first 2 shown]
	v_sub_f16_e32 v13, v4, v10
	v_add_f16_e32 v4, v10, v4
	v_sub_f16_e32 v8, v8, v11
	v_sub_f16_e32 v7, v7, v21
	v_add_f16_e32 v10, v16, v15
	v_lshlrev_b32_sdwa v11, v18, v55 dst_sel:DWORD dst_unused:UNUSED_PAD src0_sel:DWORD src1_sel:WORD_0
	v_sub_f16_e32 v12, v2, v14
	v_add_f16_e32 v17, v1, v3
	v_add_f16_e32 v2, v14, v2
	v_sub_f16_e32 v1, v3, v1
	v_sub_f16_e32 v6, v15, v16
	v_pack_b32_f16 v0, v0, v5
	v_pack_b32_f16 v3, v10, v7
	v_add_nc_u32_e32 v5, 0xe00, v11
	v_pack_b32_f16 v2, v2, v8
	v_pack_b32_f16 v1, v1, v4
	v_add_nc_u32_e32 v4, 0x1200, v11
	;; [unrolled: 3-line block ×3, first 2 shown]
	v_pack_b32_f16 v6, v6, v26
	ds_write2_b32 v5, v0, v3 offset0:14 offset1:144
	ds_write2_b32 v4, v2, v1 offset0:18 offset1:148
	;; [unrolled: 1-line block ×3, first 2 shown]
	ds_write_b32 v11, v6 offset:6760
.LBB0_17:
	s_or_b32 exec_lo, exec_lo, s1
	v_add_nc_u32_e32 v2, 0xb00, v51
	v_add_nc_u32_e32 v1, 0x1000, v51
	s_waitcnt lgkmcnt(0)
	s_barrier
	buffer_gl0_inv
	v_add_nc_u32_e32 v13, 0x500, v51
	ds_read2_b32 v[3:4], v51 offset1:182
	ds_read2_b32 v[5:6], v2 offset0:24 offset1:206
	v_add_nc_u32_e32 v0, 0x1600, v51
	ds_read2_b32 v[7:8], v1 offset0:68 offset1:250
	ds_read2_b32 v[9:10], v13 offset0:44 offset1:226
	;; [unrolled: 1-line block ×3, first 2 shown]
	s_mov_b32 s6, 0x12012012
	s_mov_b32 s7, 0x3f420120
	s_mul_i32 s3, s8, 0x2d8
	s_waitcnt lgkmcnt(4)
	v_lshrrev_b32_e32 v14, 16, v3
	s_waitcnt lgkmcnt(3)
	v_lshrrev_b32_e32 v16, 16, v6
	v_mul_f16_sdwa v25, v57, v6 dst_sel:DWORD dst_unused:UNUSED_PAD src0_sel:WORD_1 src1_sel:DWORD
	s_waitcnt lgkmcnt(2)
	v_lshrrev_b32_e32 v17, 16, v7
	v_lshrrev_b32_e32 v19, 16, v8
	s_waitcnt lgkmcnt(0)
	v_lshrrev_b32_e32 v22, 16, v11
	v_mul_f16_sdwa v26, v58, v7 dst_sel:DWORD dst_unused:UNUSED_PAD src0_sel:WORD_1 src1_sel:DWORD
	v_mul_f16_sdwa v27, v60, v8 dst_sel:DWORD dst_unused:UNUSED_PAD src0_sel:WORD_1 src1_sel:DWORD
	v_lshrrev_b32_e32 v24, 16, v12
	v_mul_f16_sdwa v30, v57, v16 dst_sel:DWORD dst_unused:UNUSED_PAD src0_sel:WORD_1 src1_sel:DWORD
	v_fma_f16 v16, v57, v16, -v25
	v_mul_f16_sdwa v25, v58, v17 dst_sel:DWORD dst_unused:UNUSED_PAD src0_sel:WORD_1 src1_sel:DWORD
	v_mul_f16_sdwa v28, v59, v11 dst_sel:DWORD dst_unused:UNUSED_PAD src0_sel:WORD_1 src1_sel:DWORD
	v_fma_f16 v17, v58, v17, -v26
	v_mul_f16_sdwa v26, v60, v19 dst_sel:DWORD dst_unused:UNUSED_PAD src0_sel:WORD_1 src1_sel:DWORD
	v_fma_f16 v19, v60, v19, -v27
	v_mul_f16_sdwa v27, v59, v22 dst_sel:DWORD dst_unused:UNUSED_PAD src0_sel:WORD_1 src1_sel:DWORD
	v_mul_f16_sdwa v29, v61, v12 dst_sel:DWORD dst_unused:UNUSED_PAD src0_sel:WORD_1 src1_sel:DWORD
	v_fmac_f16_e32 v30, v57, v6
	v_mul_f16_sdwa v6, v61, v24 dst_sel:DWORD dst_unused:UNUSED_PAD src0_sel:WORD_1 src1_sel:DWORD
	v_lshrrev_b32_e32 v15, 16, v4
	v_fmac_f16_e32 v25, v58, v7
	v_lshrrev_b32_e32 v18, 16, v9
	v_lshrrev_b32_e32 v21, 16, v10
	v_fma_f16 v22, v59, v22, -v28
	v_fmac_f16_e32 v26, v60, v8
	v_fmac_f16_e32 v27, v59, v11
	v_lshrrev_b32_e32 v23, 16, v5
	v_fma_f16 v24, v61, v24, -v29
	v_fmac_f16_e32 v6, v61, v12
	v_sub_f16_e32 v7, v3, v30
	v_sub_f16_e32 v8, v14, v16
	;; [unrolled: 1-line block ×10, first 2 shown]
	v_fma_f16 v3, v3, 2.0, -v7
	v_fma_f16 v14, v14, 2.0, -v8
	;; [unrolled: 1-line block ×4, first 2 shown]
	v_pack_b32_f16 v7, v7, v8
	v_fma_f16 v9, v9, 2.0, -v16
	v_fma_f16 v18, v18, 2.0, -v17
	;; [unrolled: 1-line block ×6, first 2 shown]
	v_pack_b32_f16 v3, v3, v14
	v_pack_b32_f16 v4, v4, v15
	ds_write_b32 v51, v7 offset:3640
	v_pack_b32_f16 v7, v11, v12
	v_pack_b32_f16 v11, v16, v17
	v_pack_b32_f16 v9, v9, v18
	v_pack_b32_f16 v8, v10, v8
	v_pack_b32_f16 v5, v5, v21
	v_pack_b32_f16 v10, v19, v22
	v_pack_b32_f16 v6, v6, v24
	ds_write2_b32 v51, v3, v4 offset1:182
	ds_write2_b32 v1, v7, v11 offset0:68 offset1:250
	ds_write2_b32 v13, v9, v8 offset0:44 offset1:226
	ds_write_b32 v51, v5 offset:2912
	ds_write2_b32 v0, v10, v6 offset0:48 offset1:230
	s_waitcnt lgkmcnt(0)
	s_barrier
	buffer_gl0_inv
	ds_read2_b32 v[3:4], v51 offset1:182
	s_waitcnt lgkmcnt(0)
	v_lshrrev_b32_e32 v5, 16, v3
	v_mul_f16_sdwa v6, v50, v3 dst_sel:DWORD dst_unused:UNUSED_PAD src0_sel:WORD_1 src1_sel:DWORD
	v_mul_f16_sdwa v7, v50, v5 dst_sel:DWORD dst_unused:UNUSED_PAD src0_sel:WORD_1 src1_sel:DWORD
	v_fma_f16 v5, v50, v5, -v6
	v_mul_f16_sdwa v6, v49, v4 dst_sel:DWORD dst_unused:UNUSED_PAD src0_sel:WORD_1 src1_sel:DWORD
	v_fmac_f16_e32 v7, v50, v3
	v_cvt_f32_f16_e32 v8, v5
	v_lshrrev_b32_e32 v3, 16, v4
	v_cvt_f32_f16_e32 v9, v7
	v_cvt_f64_f32_e32 v[7:8], v8
	v_fma_f16 v11, v49, v3, -v6
	v_mul_f16_sdwa v17, v49, v3 dst_sel:DWORD dst_unused:UNUSED_PAD src0_sel:WORD_1 src1_sel:DWORD
	ds_read2_b32 v[5:6], v13 offset0:44 offset1:226
	v_cvt_f64_f32_e32 v[9:10], v9
	v_mad_u64_u32 v[13:14], null, s8, v48, 0
	v_cvt_f32_f16_e32 v15, v11
	v_mad_u64_u32 v[11:12], null, s10, v20, 0
	v_fmac_f16_e32 v17, v49, v4
	v_cvt_f64_f32_e32 v[15:16], v15
	v_mov_b32_e32 v4, v14
	v_mov_b32_e32 v3, v12
	v_cvt_f32_f16_e32 v12, v17
	v_mad_u64_u32 v[17:18], null, s11, v20, v[3:4]
	v_cvt_f64_f32_e32 v[18:19], v12
	v_mul_f64 v[7:8], v[7:8], s[6:7]
	s_waitcnt lgkmcnt(0)
	v_lshrrev_b32_e32 v20, 16, v5
	v_mul_f64 v[9:10], v[9:10], s[6:7]
	v_mad_u64_u32 v[3:4], null, s9, v48, v[4:5]
	v_mov_b32_e32 v12, v17
	v_mul_f16_sdwa v4, v47, v20 dst_sel:DWORD dst_unused:UNUSED_PAD src0_sel:WORD_1 src1_sel:DWORD
	v_lshlrev_b64 v[11:12], 2, v[11:12]
	v_mul_f64 v[15:16], v[15:16], s[6:7]
	v_fmac_f16_e32 v4, v47, v5
	v_mov_b32_e32 v14, v3
	v_mul_f16_sdwa v5, v47, v5 dst_sel:DWORD dst_unused:UNUSED_PAD src0_sel:WORD_1 src1_sel:DWORD
	v_add_co_u32 v17, vcc_lo, s4, v11
	v_add_co_ci_u32_e32 v21, vcc_lo, s5, v12, vcc_lo
	v_cvt_f32_f16_e32 v3, v4
	v_mul_f64 v[11:12], v[18:19], s[6:7]
	v_and_or_b32 v7, 0x1ff, v8, v7
	v_lshrrev_b32_e32 v18, 8, v8
	v_and_or_b32 v9, 0x1ff, v10, v9
	v_lshrrev_b32_e32 v22, 8, v10
	v_bfe_u32 v23, v10, 20, 11
	v_bfe_u32 v19, v8, 20, 11
	v_lshrrev_b32_e32 v10, 16, v10
	v_cmp_ne_u32_e32 vcc_lo, 0, v9
	v_cvt_f64_f32_e32 v[3:4], v3
	v_sub_nc_u32_e32 v24, 0x3f1, v23
	v_add_nc_u32_e32 v23, 0xfffffc10, v23
	v_and_or_b32 v15, 0x1ff, v16, v15
	v_cndmask_b32_e64 v9, 0, 1, vcc_lo
	v_cmp_ne_u32_e32 vcc_lo, 0, v7
	v_lshrrev_b32_e32 v8, 16, v8
	v_fma_f16 v5, v47, v20, -v5
	v_and_or_b32 v9, 0xffe, v22, v9
	v_cndmask_b32_e64 v7, 0, 1, vcc_lo
	v_sub_nc_u32_e32 v22, 0x3f1, v19
	v_add_nc_u32_e32 v19, 0xfffffc10, v19
	v_and_or_b32 v11, 0x1ff, v12, v11
	v_lshrrev_b32_e32 v27, 8, v12
	v_and_or_b32 v7, 0xffe, v18, v7
	v_med3_i32 v18, v24, 0, 13
	v_or_b32_e32 v24, 0x1000, v9
	v_med3_i32 v22, v22, 0, 13
	v_cmp_ne_u32_e32 vcc_lo, 0, v11
	v_or_b32_e32 v25, 0x1000, v7
	v_lshl_or_b32 v31, v19, 12, v7
	v_lshrrev_b32_e32 v26, v18, v24
	v_bfe_u32 v28, v12, 20, 11
	v_cndmask_b32_e64 v11, 0, 1, vcc_lo
	v_lshrrev_b32_e32 v29, v22, v25
	v_mul_f64 v[3:4], v[3:4], s[6:7]
	v_lshlrev_b32_e32 v18, v18, v26
	v_sub_nc_u32_e32 v30, 0x3f1, v28
	v_and_or_b32 v11, 0xffe, v27, v11
	v_lshlrev_b32_e32 v22, v22, v29
	v_cvt_f32_f16_e32 v5, v5
	v_cmp_ne_u32_e32 vcc_lo, v18, v24
	v_lshl_or_b32 v24, v23, 12, v9
	v_cndmask_b32_e64 v18, 0, 1, vcc_lo
	v_cmp_ne_u32_e32 vcc_lo, v22, v25
	v_med3_i32 v25, v30, 0, 13
	v_or_b32_e32 v18, v26, v18
	v_cndmask_b32_e64 v22, 0, 1, vcc_lo
	v_cmp_ne_u32_e32 vcc_lo, 0, v7
	v_or_b32_e32 v26, 0x1000, v11
	v_or_b32_e32 v22, v29, v22
	v_cndmask_b32_e64 v7, 0, 1, vcc_lo
	v_cmp_gt_i32_e32 vcc_lo, 1, v23
	v_and_or_b32 v3, 0x1ff, v4, v3
	v_lshl_or_b32 v7, v7, 9, 0x7c00
	v_cndmask_b32_e32 v18, v24, v18, vcc_lo
	v_cmp_gt_i32_e32 vcc_lo, 1, v19
	v_and_b32_e32 v24, 7, v18
	v_cndmask_b32_e32 v22, v31, v22, vcc_lo
	v_cmp_ne_u32_e32 vcc_lo, 0, v9
	v_lshrrev_b32_e32 v18, 2, v18
	v_cmp_eq_u32_e64 s0, 3, v24
	v_and_b32_e32 v27, 7, v22
	v_cndmask_b32_e64 v9, 0, 1, vcc_lo
	v_cmp_lt_i32_e32 vcc_lo, 5, v24
	v_lshrrev_b32_e32 v22, 2, v22
	v_lshrrev_b32_e32 v24, v25, v26
	v_cmp_lt_i32_e64 s1, 5, v27
	v_cmp_eq_u32_e64 s2, 3, v27
	s_or_b32 vcc_lo, s0, vcc_lo
	v_lshl_or_b32 v9, v9, 9, 0x7c00
	v_add_co_ci_u32_e32 v18, vcc_lo, 0, v18, vcc_lo
	s_or_b32 vcc_lo, s2, s1
	s_mul_hi_u32 s2, s8, 0x2d8
	v_add_co_ci_u32_e32 v22, vcc_lo, 0, v22, vcc_lo
	v_cmp_gt_i32_e32 vcc_lo, 31, v23
	v_cndmask_b32_e32 v18, 0x7c00, v18, vcc_lo
	v_cmp_gt_i32_e32 vcc_lo, 31, v19
	v_cndmask_b32_e32 v22, 0x7c00, v22, vcc_lo
	v_cmp_eq_u32_e32 vcc_lo, 0x40f, v23
	v_lshlrev_b32_e32 v23, v25, v24
	v_cndmask_b32_e32 v9, v18, v9, vcc_lo
	v_cmp_eq_u32_e32 vcc_lo, 0x40f, v19
	v_lshrrev_b32_e32 v18, 8, v16
	v_add_nc_u32_e32 v19, 0xfffffc10, v28
	v_and_or_b32 v9, 0x8000, v10, v9
	v_cndmask_b32_e32 v7, v22, v7, vcc_lo
	v_cmp_ne_u32_e32 vcc_lo, v23, v26
	v_lshl_or_b32 v22, v19, 12, v11
	v_and_or_b32 v7, 0x8000, v8, v7
	v_cndmask_b32_e64 v10, 0, 1, vcc_lo
	v_cmp_ne_u32_e32 vcc_lo, 0, v15
	v_and_b32_e32 v8, 0xffff, v9
	v_bfe_u32 v15, v16, 20, 11
	v_lshrrev_b32_e32 v16, 16, v16
	v_or_b32_e32 v10, v24, v10
	v_cndmask_b32_e64 v9, 0, 1, vcc_lo
	v_cmp_gt_i32_e32 vcc_lo, 1, v19
	v_lshl_or_b32 v23, v7, 16, v8
	v_lshlrev_b64 v[7:8], 2, v[13:14]
	v_and_or_b32 v18, 0xffe, v18, v9
	v_sub_nc_u32_e32 v9, 0x3f1, v15
	v_cndmask_b32_e32 v10, v22, v10, vcc_lo
	v_add_nc_u32_e32 v15, 0xfffffc10, v15
	v_add_co_u32 v7, vcc_lo, v17, v7
	v_or_b32_e32 v13, 0x1000, v18
	v_med3_i32 v9, v9, 0, 13
	v_and_b32_e32 v17, 7, v10
	v_add_co_ci_u32_e32 v8, vcc_lo, v21, v8, vcc_lo
	v_lshrrev_b32_e32 v14, v9, v13
	v_cmp_lt_i32_e32 vcc_lo, 5, v17
	v_cmp_eq_u32_e64 s0, 3, v17
	v_lshrrev_b32_e32 v17, 2, v10
	global_store_dword v[7:8], v23, off
	v_lshlrev_b32_e32 v9, v9, v14
	s_or_b32 vcc_lo, s0, vcc_lo
	v_cmp_ne_u32_e64 s1, v9, v13
	v_cvt_f64_f32_e32 v[9:10], v5
	v_add_co_ci_u32_e32 v5, vcc_lo, 0, v17, vcc_lo
	v_cmp_ne_u32_e32 vcc_lo, 0, v11
	v_cndmask_b32_e64 v13, 0, 1, s1
	v_bfe_u32 v17, v4, 20, 11
	v_cmp_eq_u32_e64 s1, 0x40f, v19
	v_cndmask_b32_e64 v11, 0, 1, vcc_lo
	v_or_b32_e32 v13, v14, v13
	v_lshl_or_b32 v14, v15, 12, v18
	v_cmp_gt_i32_e32 vcc_lo, 1, v15
	v_lshl_or_b32 v11, v11, 9, 0x7c00
	v_cndmask_b32_e32 v13, v14, v13, vcc_lo
	v_cmp_ne_u32_e32 vcc_lo, 0, v3
	v_lshrrev_b32_e32 v14, 8, v4
	v_lshrrev_b32_e32 v4, 16, v4
	v_and_b32_e32 v20, 7, v13
	v_cndmask_b32_e64 v3, 0, 1, vcc_lo
	v_cmp_gt_i32_e32 vcc_lo, 31, v19
	v_mul_f64 v[9:10], v[9:10], s[6:7]
	v_lshrrev_b32_e32 v13, 2, v13
	v_cmp_eq_u32_e64 s0, 3, v20
	v_and_or_b32 v3, 0xffe, v14, v3
	v_sub_nc_u32_e32 v14, 0x3f1, v17
	v_cndmask_b32_e32 v5, 0x7c00, v5, vcc_lo
	v_cmp_lt_i32_e32 vcc_lo, 5, v20
	v_lshrrev_b32_e32 v19, 16, v12
	v_or_b32_e32 v21, 0x1000, v3
	v_med3_i32 v14, v14, 0, 13
	v_cndmask_b32_e64 v5, v5, v11, s1
	s_or_b32 vcc_lo, s0, vcc_lo
	v_add_nc_u32_e32 v17, 0xfffffc10, v17
	v_add_co_ci_u32_e32 v13, vcc_lo, 0, v13, vcc_lo
	v_lshrrev_b32_e32 v11, v14, v21
	v_cmp_ne_u32_e32 vcc_lo, 0, v18
	v_and_or_b32 v5, 0x8000, v19, v5
	v_lshlrev_b32_e32 v12, v14, v11
	v_cndmask_b32_e64 v18, 0, 1, vcc_lo
	v_cmp_gt_i32_e32 vcc_lo, 31, v15
	v_and_or_b32 v9, 0x1ff, v10, v9
	v_and_b32_e32 v5, 0xffff, v5
	v_lshl_or_b32 v14, v18, 9, 0x7c00
	v_cndmask_b32_e32 v13, 0x7c00, v13, vcc_lo
	v_cmp_ne_u32_e32 vcc_lo, v12, v21
	v_lshrrev_b32_e32 v18, 16, v6
	v_cndmask_b32_e64 v12, 0, 1, vcc_lo
	v_cmp_eq_u32_e32 vcc_lo, 0x40f, v15
	v_mul_f16_sdwa v20, v46, v18 dst_sel:DWORD dst_unused:UNUSED_PAD src0_sel:WORD_1 src1_sel:DWORD
	v_bfe_u32 v15, v10, 20, 11
	v_or_b32_e32 v11, v11, v12
	v_cndmask_b32_e32 v13, v13, v14, vcc_lo
	v_cmp_ne_u32_e32 vcc_lo, 0, v9
	v_fmac_f16_e32 v20, v46, v6
	v_lshrrev_b32_e32 v14, 8, v10
	v_lshl_or_b32 v12, v17, 12, v3
	v_and_or_b32 v13, 0x8000, v16, v13
	v_cndmask_b32_e64 v9, 0, 1, vcc_lo
	v_cmp_gt_i32_e32 vcc_lo, 1, v17
	v_cvt_f32_f16_e32 v20, v20
	v_mul_f16_sdwa v6, v46, v6 dst_sel:DWORD dst_unused:UNUSED_PAD src0_sel:WORD_1 src1_sel:DWORD
	v_lshrrev_b32_e32 v10, 16, v10
	v_and_or_b32 v9, 0xffe, v14, v9
	v_sub_nc_u32_e32 v14, 0x3f1, v15
	v_cndmask_b32_e32 v21, v12, v11, vcc_lo
	v_cvt_f64_f32_e32 v[11:12], v20
	v_fma_f16 v6, v46, v18, -v6
	v_or_b32_e32 v20, 0x1000, v9
	v_med3_i32 v14, v14, 0, 13
	v_and_b32_e32 v19, 7, v21
	v_add_nc_u32_e32 v15, 0xfffffc10, v15
	v_cvt_f32_f16_e32 v18, v6
	v_lshrrev_b32_e32 v16, v14, v20
	v_cmp_lt_i32_e32 vcc_lo, 5, v19
	v_cmp_eq_u32_e64 s0, 3, v19
	v_lshl_or_b32 v19, v13, 16, v5
	v_lshrrev_b32_e32 v5, 2, v21
	v_lshlrev_b32_e32 v13, v14, v16
	s_or_b32 vcc_lo, s0, vcc_lo
	s_mul_i32 s0, s9, 0x2d8
	v_add_co_ci_u32_e32 v14, vcc_lo, 0, v5, vcc_lo
	v_cmp_ne_u32_e32 vcc_lo, v13, v20
	s_add_i32 s2, s2, s0
	v_mul_f64 v[5:6], v[11:12], s[6:7]
	v_cvt_f64_f32_e32 v[11:12], v18
	v_cndmask_b32_e64 v13, 0, 1, vcc_lo
	v_cmp_ne_u32_e32 vcc_lo, 0, v3
	v_or_b32_e32 v13, v16, v13
	v_cndmask_b32_e64 v3, 0, 1, vcc_lo
	v_cmp_gt_i32_e32 vcc_lo, 31, v17
	v_lshl_or_b32 v16, v15, 12, v9
	v_lshl_or_b32 v3, v3, 9, 0x7c00
	v_cndmask_b32_e32 v14, 0x7c00, v14, vcc_lo
	v_cmp_gt_i32_e32 vcc_lo, 1, v15
	v_cndmask_b32_e32 v13, v16, v13, vcc_lo
	v_cmp_eq_u32_e32 vcc_lo, 0x40f, v17
	v_and_or_b32 v17, 0x1ff, v6, v5
	v_and_b32_e32 v16, 7, v13
	v_cndmask_b32_e32 v14, v14, v3, vcc_lo
	ds_read2_b32 v[2:3], v2 offset0:24 offset1:206
	v_cmp_ne_u32_e64 s1, 0, v17
	v_cmp_lt_i32_e32 vcc_lo, 5, v16
	v_and_or_b32 v14, 0x8000, v4, v14
	v_mul_f64 v[4:5], v[11:12], s[6:7]
	v_cmp_eq_u32_e64 s0, 3, v16
	v_lshrrev_b32_e32 v11, 2, v13
	v_cndmask_b32_e64 v12, 0, 1, s1
	v_lshrrev_b32_e32 v13, 8, v6
	v_bfe_u32 v16, v6, 20, 11
	s_or_b32 vcc_lo, s0, vcc_lo
	v_lshrrev_b32_e32 v6, 16, v6
	v_add_co_ci_u32_e32 v11, vcc_lo, 0, v11, vcc_lo
	v_and_or_b32 v17, 0xffe, v13, v12
	v_sub_nc_u32_e32 v12, 0x3f1, v16
	v_cmp_ne_u32_e32 vcc_lo, 0, v9
	v_add_nc_u32_e32 v16, 0xfffffc10, v16
	s_waitcnt lgkmcnt(0)
	v_lshrrev_b32_e32 v13, 16, v2
	v_or_b32_e32 v18, 0x1000, v17
	v_cndmask_b32_e64 v9, 0, 1, vcc_lo
	v_med3_i32 v12, v12, 0, 13
	v_cmp_gt_i32_e32 vcc_lo, 31, v15
	v_mul_f16_sdwa v20, v45, v13 dst_sel:DWORD dst_unused:UNUSED_PAD src0_sel:WORD_1 src1_sel:DWORD
	v_lshl_or_b32 v9, v9, 9, 0x7c00
	v_lshrrev_b32_e32 v21, v12, v18
	v_cndmask_b32_e32 v11, 0x7c00, v11, vcc_lo
	v_and_or_b32 v4, 0x1ff, v5, v4
	v_cmp_eq_u32_e32 vcc_lo, 0x40f, v15
	v_fmac_f16_e32 v20, v45, v2
	v_lshlrev_b32_e32 v15, v12, v21
	v_bfe_u32 v22, v5, 20, 11
	v_mul_f16_sdwa v2, v45, v2 dst_sel:DWORD dst_unused:UNUSED_PAD src0_sel:WORD_1 src1_sel:DWORD
	v_cndmask_b32_e32 v9, v11, v9, vcc_lo
	v_cmp_ne_u32_e32 vcc_lo, 0, v4
	v_cvt_f32_f16_e32 v11, v20
	v_lshrrev_b32_e32 v20, 8, v5
	v_fma_f16 v2, v45, v13, -v2
	v_and_or_b32 v9, 0x8000, v10, v9
	v_cndmask_b32_e64 v4, 0, 1, vcc_lo
	v_cmp_ne_u32_e32 vcc_lo, v15, v18
	v_cvt_f64_f32_e32 v[11:12], v11
	v_sub_nc_u32_e32 v18, 0x3f1, v22
	v_and_b32_e32 v10, 0xffff, v14
	v_and_or_b32 v4, 0xffe, v20, v4
	v_cndmask_b32_e64 v15, 0, 1, vcc_lo
	v_lshl_or_b32 v20, v16, 12, v17
	v_med3_i32 v18, v18, 0, 13
	v_cmp_gt_i32_e32 vcc_lo, 1, v16
	v_cvt_f32_f16_e32 v2, v2
	v_or_b32_e32 v15, v21, v15
	v_or_b32_e32 v21, 0x1000, v4
	v_cndmask_b32_e32 v14, v20, v15, vcc_lo
	v_lshrrev_b32_e32 v15, v18, v21
	v_add_co_u32 v7, vcc_lo, v7, s3
	v_add_co_ci_u32_e32 v8, vcc_lo, s2, v8, vcc_lo
	v_lshlrev_b32_e32 v18, v18, v15
	v_and_b32_e32 v23, 7, v14
	v_lshl_or_b32 v20, v9, 16, v10
	v_mul_f64 v[9:10], v[11:12], s[6:7]
	v_add_co_u32 v11, vcc_lo, v7, s3
	v_cmp_ne_u32_e64 s0, v18, v21
	v_add_co_ci_u32_e32 v12, vcc_lo, s2, v8, vcc_lo
	v_cmp_lt_i32_e32 vcc_lo, 5, v23
	v_lshrrev_b32_e32 v21, 2, v14
	v_cndmask_b32_e64 v13, 0, 1, s0
	v_cmp_eq_u32_e64 s0, 3, v23
	v_add_nc_u32_e32 v18, 0xfffffc10, v22
	global_store_dword v[7:8], v19, off
	global_store_dword v[11:12], v20, off
	v_or_b32_e32 v15, v15, v13
	s_or_b32 vcc_lo, s0, vcc_lo
	v_cvt_f64_f32_e32 v[13:14], v2
	v_add_co_ci_u32_e32 v2, vcc_lo, 0, v21, vcc_lo
	v_cmp_ne_u32_e32 vcc_lo, 0, v17
	v_lshl_or_b32 v22, v18, 12, v4
	v_and_or_b32 v9, 0x1ff, v10, v9
	v_cndmask_b32_e64 v17, 0, 1, vcc_lo
	v_cmp_gt_i32_e32 vcc_lo, 1, v18
	v_bfe_u32 v23, v10, 20, 11
	v_lshl_or_b32 v17, v17, 9, 0x7c00
	v_cndmask_b32_e32 v15, v22, v15, vcc_lo
	v_cmp_gt_i32_e32 vcc_lo, 31, v16
	v_lshrrev_b32_e32 v22, 8, v10
	v_lshrrev_b32_e32 v10, 16, v10
	v_and_b32_e32 v21, 7, v15
	v_cndmask_b32_e32 v2, 0x7c00, v2, vcc_lo
	v_cmp_ne_u32_e32 vcc_lo, 0, v9
	v_mul_f64 v[13:14], v[13:14], s[6:7]
	v_lshrrev_b32_e32 v15, 2, v15
	v_cmp_eq_u32_e64 s0, 3, v21
	v_cndmask_b32_e64 v9, 0, 1, vcc_lo
	v_cmp_eq_u32_e32 vcc_lo, 0x40f, v16
	v_sub_nc_u32_e32 v16, 0x3f1, v23
	v_and_or_b32 v9, 0xffe, v22, v9
	v_cndmask_b32_e32 v2, v2, v17, vcc_lo
	v_cmp_lt_i32_e32 vcc_lo, 5, v21
	v_med3_i32 v16, v16, 0, 13
	v_lshrrev_b32_e32 v21, 16, v3
	v_or_b32_e32 v17, 0x1000, v9
	v_and_or_b32 v2, 0x8000, v6, v2
	s_or_b32 vcc_lo, s0, vcc_lo
	v_add_co_ci_u32_e32 v15, vcc_lo, 0, v15, vcc_lo
	v_cmp_ne_u32_e32 vcc_lo, 0, v4
	v_lshrrev_b32_e32 v22, v16, v17
	v_mul_f16_sdwa v24, v44, v21 dst_sel:DWORD dst_unused:UNUSED_PAD src0_sel:WORD_1 src1_sel:DWORD
	v_and_b32_e32 v2, 0xffff, v2
	v_cndmask_b32_e64 v4, 0, 1, vcc_lo
	v_cmp_gt_i32_e32 vcc_lo, 31, v18
	v_lshlrev_b32_e32 v6, v16, v22
	v_fmac_f16_e32 v24, v44, v3
	v_lshrrev_b32_e32 v16, 16, v5
	v_lshl_or_b32 v4, v4, 9, 0x7c00
	v_cndmask_b32_e32 v15, 0x7c00, v15, vcc_lo
	v_cmp_eq_u32_e32 vcc_lo, 0x40f, v18
	v_cvt_f32_f16_e32 v5, v24
	v_lshrrev_b32_e32 v18, 8, v14
	v_cndmask_b32_e32 v15, v15, v4, vcc_lo
	v_and_or_b32 v4, 0x1ff, v14, v13
	v_cmp_ne_u32_e32 vcc_lo, v6, v17
	v_add_nc_u32_e32 v13, 0xfffffc10, v23
	v_bfe_u32 v23, v14, 20, 11
	v_and_or_b32 v15, 0x8000, v16, v15
	v_cndmask_b32_e64 v6, 0, 1, vcc_lo
	v_cmp_ne_u32_e32 vcc_lo, 0, v4
	v_cvt_f64_f32_e32 v[4:5], v5
	v_lshl_or_b32 v16, v13, 12, v9
	v_lshl_or_b32 v15, v15, 16, v2
	v_or_b32_e32 v6, v22, v6
	v_cndmask_b32_e64 v17, 0, 1, vcc_lo
	v_cmp_gt_i32_e32 vcc_lo, 1, v13
	v_and_or_b32 v17, 0xffe, v18, v17
	v_sub_nc_u32_e32 v18, 0x3f1, v23
	v_cndmask_b32_e32 v16, v16, v6, vcc_lo
	v_add_co_u32 v6, vcc_lo, v11, s3
	v_or_b32_e32 v22, 0x1000, v17
	v_med3_i32 v18, v18, 0, 13
	v_and_b32_e32 v2, 7, v16
	v_add_co_ci_u32_e32 v7, vcc_lo, s2, v12, vcc_lo
	v_add_nc_u32_e32 v12, 0xfffffc10, v23
	v_lshrrev_b32_e32 v8, v18, v22
	v_cmp_lt_i32_e32 vcc_lo, 5, v2
	v_mul_f64 v[4:5], v[4:5], s[6:7]
	v_cmp_eq_u32_e64 s0, 3, v2
	v_mul_f16_sdwa v2, v44, v3 dst_sel:DWORD dst_unused:UNUSED_PAD src0_sel:WORD_1 src1_sel:DWORD
	v_lshlrev_b32_e32 v11, v18, v8
	v_lshrrev_b32_e32 v3, 2, v16
	v_lshl_or_b32 v16, v12, 12, v17
	s_or_b32 vcc_lo, s0, vcc_lo
	v_fma_f16 v2, v44, v21, -v2
	v_cmp_ne_u32_e64 s1, v11, v22
	v_add_co_ci_u32_e32 v3, vcc_lo, 0, v3, vcc_lo
	v_cmp_ne_u32_e32 vcc_lo, 0, v9
	global_store_dword v[6:7], v15, off
	v_cndmask_b32_e64 v11, 0, 1, s1
	v_cndmask_b32_e64 v18, 0, 1, vcc_lo
	v_cmp_gt_i32_e32 vcc_lo, 1, v12
	v_or_b32_e32 v11, v8, v11
	v_cvt_f32_f16_e32 v8, v2
	ds_read2_b32 v[1:2], v1 offset0:68 offset1:250
	v_and_or_b32 v4, 0x1ff, v5, v4
	v_cndmask_b32_e32 v11, v16, v11, vcc_lo
	v_cvt_f64_f32_e32 v[8:9], v8
	v_cmp_gt_i32_e32 vcc_lo, 31, v13
	v_lshl_or_b32 v16, v18, 9, 0x7c00
	v_bfe_u32 v20, v5, 20, 11
	v_and_b32_e32 v18, 7, v11
	v_lshrrev_b32_e32 v19, 8, v5
	v_cndmask_b32_e32 v3, 0x7c00, v3, vcc_lo
	v_cmp_ne_u32_e32 vcc_lo, 0, v4
	v_lshrrev_b32_e32 v11, 2, v11
	v_cmp_eq_u32_e64 s0, 3, v18
	v_lshrrev_b32_e32 v5, 16, v5
	v_cndmask_b32_e64 v4, 0, 1, vcc_lo
	v_cmp_eq_u32_e32 vcc_lo, 0x40f, v13
	v_cndmask_b32_e32 v13, v3, v16, vcc_lo
	v_sub_nc_u32_e32 v3, 0x3f1, v20
	v_cmp_lt_i32_e32 vcc_lo, 5, v18
	v_and_or_b32 v16, 0xffe, v19, v4
	s_waitcnt lgkmcnt(0)
	v_lshrrev_b32_e32 v18, 16, v1
	v_and_or_b32 v10, 0x8000, v10, v13
	v_med3_i32 v21, v3, 0, 13
	v_mul_f64 v[3:4], v[8:9], s[6:7]
	s_or_b32 vcc_lo, s0, vcc_lo
	v_or_b32_e32 v19, 0x1000, v16
	v_add_co_ci_u32_e32 v9, vcc_lo, 0, v11, vcc_lo
	v_cmp_ne_u32_e32 vcc_lo, 0, v17
	v_mul_f16_sdwa v8, v43, v18 dst_sel:DWORD dst_unused:UNUSED_PAD src0_sel:WORD_1 src1_sel:DWORD
	v_lshrrev_b32_e32 v17, v21, v19
	v_and_b32_e32 v10, 0xffff, v10
	v_cndmask_b32_e64 v11, 0, 1, vcc_lo
	v_cmp_gt_i32_e32 vcc_lo, 31, v12
	v_lshlrev_b32_e32 v21, v21, v17
	v_fmac_f16_e32 v8, v43, v1
	v_mul_f16_sdwa v1, v43, v1 dst_sel:DWORD dst_unused:UNUSED_PAD src0_sel:WORD_1 src1_sel:DWORD
	v_lshl_or_b32 v11, v11, 9, 0x7c00
	v_cndmask_b32_e32 v9, 0x7c00, v9, vcc_lo
	v_cmp_eq_u32_e32 vcc_lo, 0x40f, v12
	v_cvt_f32_f16_e32 v8, v8
	v_lshrrev_b32_e32 v12, 16, v14
	v_fma_f16 v1, v43, v18, -v1
	v_lshrrev_b32_e32 v18, 16, v2
	v_cndmask_b32_e32 v11, v9, v11, vcc_lo
	v_cmp_ne_u32_e32 vcc_lo, v21, v19
	v_and_or_b32 v3, 0x1ff, v4, v3
	v_add_nc_u32_e32 v19, 0xfffffc10, v20
	v_cvt_f64_f32_e32 v[8:9], v8
	v_and_or_b32 v11, 0x8000, v12, v11
	v_cndmask_b32_e64 v14, 0, 1, vcc_lo
	v_cmp_ne_u32_e32 vcc_lo, 0, v3
	v_lshl_or_b32 v13, v19, 12, v16
	v_cvt_f32_f16_e32 v1, v1
	v_lshl_or_b32 v10, v11, 16, v10
	v_or_b32_e32 v12, v17, v14
	v_cndmask_b32_e64 v3, 0, 1, vcc_lo
	v_lshrrev_b32_e32 v14, 8, v4
	v_bfe_u32 v17, v4, 20, 11
	v_cmp_gt_i32_e32 vcc_lo, 1, v19
	v_lshrrev_b32_e32 v4, 16, v4
	v_and_or_b32 v3, 0xffe, v14, v3
	v_cndmask_b32_e32 v12, v13, v12, vcc_lo
	v_sub_nc_u32_e32 v13, 0x3f1, v17
	v_add_co_u32 v6, vcc_lo, v6, s3
	v_or_b32_e32 v14, 0x1000, v3
	v_and_b32_e32 v11, 7, v12
	v_med3_i32 v13, v13, 0, 13
	v_add_co_ci_u32_e32 v7, vcc_lo, s2, v7, vcc_lo
	v_mul_f64 v[8:9], v[8:9], s[6:7]
	v_cmp_lt_i32_e32 vcc_lo, 5, v11
	v_lshrrev_b32_e32 v15, v13, v14
	v_cmp_eq_u32_e64 s0, 3, v11
	global_store_dword v[6:7], v10, off
	v_lshrrev_b32_e32 v10, 2, v12
	v_lshlrev_b32_e32 v11, v13, v15
	s_or_b32 vcc_lo, s0, vcc_lo
	v_add_co_ci_u32_e32 v12, vcc_lo, 0, v10, vcc_lo
	v_cmp_ne_u32_e32 vcc_lo, v11, v14
	v_add_nc_u32_e32 v14, 0xfffffc10, v17
	v_cvt_f64_f32_e32 v[10:11], v1
	v_cndmask_b32_e64 v13, 0, 1, vcc_lo
	v_cmp_ne_u32_e32 vcc_lo, 0, v16
	v_or_b32_e32 v1, v15, v13
	v_cndmask_b32_e64 v16, 0, 1, vcc_lo
	v_cmp_gt_i32_e32 vcc_lo, 31, v19
	v_lshl_or_b32 v13, v14, 12, v3
	v_and_or_b32 v8, 0x1ff, v9, v8
	v_lshl_or_b32 v15, v16, 9, 0x7c00
	v_cndmask_b32_e32 v12, 0x7c00, v12, vcc_lo
	v_cmp_gt_i32_e32 vcc_lo, 1, v14
	v_bfe_u32 v16, v9, 20, 11
	v_cndmask_b32_e32 v1, v13, v1, vcc_lo
	v_cmp_ne_u32_e32 vcc_lo, 0, v8
	v_lshrrev_b32_e32 v13, 8, v9
	v_mul_f64 v[10:11], v[10:11], s[6:7]
	v_lshrrev_b32_e32 v9, 16, v9
	v_cndmask_b32_e64 v8, 0, 1, vcc_lo
	v_cmp_eq_u32_e32 vcc_lo, 0x40f, v19
	v_and_or_b32 v17, 0xffe, v13, v8
	v_cndmask_b32_e32 v12, v12, v15, vcc_lo
	v_and_b32_e32 v15, 7, v1
	v_sub_nc_u32_e32 v8, 0x3f1, v16
	v_lshrrev_b32_e32 v1, 2, v1
	v_or_b32_e32 v19, 0x1000, v17
	v_mul_f16_sdwa v13, v42, v18 dst_sel:DWORD dst_unused:UNUSED_PAD src0_sel:WORD_1 src1_sel:DWORD
	v_cmp_lt_i32_e32 vcc_lo, 5, v15
	v_cmp_eq_u32_e64 s0, 3, v15
	v_med3_i32 v8, v8, 0, 13
	v_and_or_b32 v5, 0x8000, v5, v12
	v_fmac_f16_e32 v13, v42, v2
	v_add_nc_u32_e32 v16, 0xfffffc10, v16
	s_or_b32 vcc_lo, s0, vcc_lo
	v_lshrrev_b32_e32 v15, v8, v19
	v_add_co_ci_u32_e32 v1, vcc_lo, 0, v1, vcc_lo
	v_cmp_ne_u32_e32 vcc_lo, 0, v3
	v_cvt_f32_f16_e32 v12, v13
	v_lshlrev_b32_e32 v8, v8, v15
	v_and_or_b32 v10, 0x1ff, v11, v10
	v_and_b32_e32 v5, 0xffff, v5
	v_cndmask_b32_e64 v3, 0, 1, vcc_lo
	v_cmp_gt_i32_e32 vcc_lo, 31, v14
	v_cvt_f64_f32_e32 v[12:13], v12
	v_mul_f16_sdwa v2, v42, v2 dst_sel:DWORD dst_unused:UNUSED_PAD src0_sel:WORD_1 src1_sel:DWORD
	v_lshl_or_b32 v3, v3, 9, 0x7c00
	v_cndmask_b32_e32 v1, 0x7c00, v1, vcc_lo
	v_cmp_ne_u32_e32 vcc_lo, v8, v19
	v_cndmask_b32_e64 v8, 0, 1, vcc_lo
	v_cmp_eq_u32_e32 vcc_lo, 0x40f, v14
	v_lshrrev_b32_e32 v14, 8, v11
	v_cndmask_b32_e32 v1, v1, v3, vcc_lo
	v_cmp_ne_u32_e32 vcc_lo, 0, v10
	v_or_b32_e32 v3, v15, v8
	v_lshl_or_b32 v8, v16, 12, v17
	v_bfe_u32 v15, v11, 20, 11
	v_and_or_b32 v1, 0x8000, v4, v1
	v_cndmask_b32_e64 v10, 0, 1, vcc_lo
	v_cmp_gt_i32_e32 vcc_lo, 1, v16
	v_lshrrev_b32_e32 v11, 16, v11
	v_lshl_or_b32 v21, v1, 16, v5
	v_and_or_b32 v14, 0xffe, v14, v10
	v_cndmask_b32_e32 v8, v8, v3, vcc_lo
	v_sub_nc_u32_e32 v3, 0x3f1, v15
	v_add_co_u32 v1, s1, v6, s3
	v_or_b32_e32 v19, 0x1000, v14
	v_and_b32_e32 v10, 7, v8
	v_med3_i32 v20, v3, 0, 13
	v_mul_f64 v[3:4], v[12:13], s[6:7]
	v_lshrrev_b32_e32 v6, 2, v8
	v_fma_f16 v5, v42, v18, -v2
	v_cmp_lt_i32_e32 vcc_lo, 5, v10
	v_cmp_eq_u32_e64 s0, 3, v10
	v_lshrrev_b32_e32 v10, v20, v19
	v_add_co_ci_u32_e64 v2, s1, s2, v7, s1
	v_cvt_f32_f16_e32 v8, v5
	s_or_b32 vcc_lo, s0, vcc_lo
	v_lshlrev_b32_e32 v7, v20, v10
	v_add_co_ci_u32_e32 v12, vcc_lo, 0, v6, vcc_lo
	ds_read2_b32 v[5:6], v0 offset0:48 offset1:230
	v_add_nc_u32_e32 v13, 0xfffffc10, v15
	v_cmp_ne_u32_e32 vcc_lo, v7, v19
	v_cvt_f64_f32_e32 v[7:8], v8
	v_cndmask_b32_e64 v0, 0, 1, vcc_lo
	v_cmp_gt_i32_e32 vcc_lo, 31, v16
	v_and_or_b32 v3, 0x1ff, v4, v3
	v_lshrrev_b32_e32 v15, 8, v4
	v_bfe_u32 v18, v4, 20, 11
	v_or_b32_e32 v0, v10, v0
	v_cndmask_b32_e32 v12, 0x7c00, v12, vcc_lo
	v_cmp_ne_u32_e32 vcc_lo, 0, v3
	v_lshl_or_b32 v10, v13, 12, v14
	v_cndmask_b32_e64 v3, 0, 1, vcc_lo
	v_cmp_ne_u32_e32 vcc_lo, 0, v17
	v_and_or_b32 v3, 0xffe, v15, v3
	v_cndmask_b32_e64 v17, 0, 1, vcc_lo
	v_cmp_gt_i32_e32 vcc_lo, 1, v13
	v_mul_f64 v[7:8], v[7:8], s[6:7]
	v_or_b32_e32 v20, 0x1000, v3
	v_lshl_or_b32 v15, v17, 9, 0x7c00
	v_cndmask_b32_e32 v0, v10, v0, vcc_lo
	v_sub_nc_u32_e32 v10, 0x3f1, v18
	v_cmp_eq_u32_e32 vcc_lo, 0x40f, v16
	s_waitcnt lgkmcnt(0)
	v_lshrrev_b32_e32 v17, 16, v5
	v_add_nc_u32_e32 v18, 0xfffffc10, v18
	v_and_b32_e32 v19, 7, v0
	v_med3_i32 v10, v10, 0, 13
	v_cndmask_b32_e32 v12, v12, v15, vcc_lo
	v_lshrrev_b32_e32 v0, 2, v0
	v_mul_f16_sdwa v22, v41, v17 dst_sel:DWORD dst_unused:UNUSED_PAD src0_sel:WORD_1 src1_sel:DWORD
	v_cmp_lt_i32_e32 vcc_lo, 5, v19
	v_lshrrev_b32_e32 v15, v10, v20
	v_cmp_eq_u32_e64 s0, 3, v19
	v_and_or_b32 v12, 0x8000, v9, v12
	v_fmac_f16_e32 v22, v41, v5
	v_mul_f16_sdwa v5, v41, v5 dst_sel:DWORD dst_unused:UNUSED_PAD src0_sel:WORD_1 src1_sel:DWORD
	v_lshlrev_b32_e32 v9, v10, v15
	s_or_b32 vcc_lo, s0, vcc_lo
	v_and_or_b32 v7, 0x1ff, v8, v7
	v_add_co_ci_u32_e32 v0, vcc_lo, 0, v0, vcc_lo
	v_cmp_ne_u32_e32 vcc_lo, v9, v20
	v_cvt_f32_f16_e32 v10, v22
	v_bfe_u32 v19, v8, 20, 11
	v_and_b32_e32 v12, 0xffff, v12
	v_fma_f16 v5, v41, v17, -v5
	v_cndmask_b32_e64 v16, 0, 1, vcc_lo
	v_cmp_ne_u32_e32 vcc_lo, 0, v14
	v_cvt_f64_f32_e32 v[9:10], v10
	v_cvt_f32_f16_e32 v5, v5
	v_or_b32_e32 v15, v15, v16
	v_cndmask_b32_e64 v14, 0, 1, vcc_lo
	v_cmp_gt_i32_e32 vcc_lo, 31, v13
	v_lshl_or_b32 v16, v18, 12, v3
	v_lshl_or_b32 v14, v14, 9, 0x7c00
	v_cndmask_b32_e32 v0, 0x7c00, v0, vcc_lo
	v_cmp_gt_i32_e32 vcc_lo, 1, v18
	v_cndmask_b32_e32 v15, v16, v15, vcc_lo
	v_cmp_ne_u32_e32 vcc_lo, 0, v7
	v_lshrrev_b32_e32 v16, 8, v8
	v_and_b32_e32 v20, 7, v15
	v_cndmask_b32_e64 v7, 0, 1, vcc_lo
	v_cmp_eq_u32_e32 vcc_lo, 0x40f, v13
	v_sub_nc_u32_e32 v13, 0x3f1, v19
	v_mul_f64 v[9:10], v[9:10], s[6:7]
	v_cmp_eq_u32_e64 s0, 3, v20
	v_and_or_b32 v7, 0xffe, v16, v7
	v_cndmask_b32_e32 v0, v0, v14, vcc_lo
	v_cmp_lt_i32_e32 vcc_lo, 5, v20
	v_med3_i32 v13, v13, 0, 13
	v_add_nc_u32_e32 v16, 0xfffffc10, v19
	v_or_b32_e32 v14, 0x1000, v7
	v_and_or_b32 v0, 0x8000, v11, v0
	v_lshrrev_b32_e32 v11, 2, v15
	s_or_b32 vcc_lo, s0, vcc_lo
	v_lshrrev_b32_e32 v15, v13, v14
	v_lshl_or_b32 v0, v0, 16, v12
	v_add_co_ci_u32_e32 v11, vcc_lo, 0, v11, vcc_lo
	v_cmp_ne_u32_e32 vcc_lo, 0, v3
	v_lshlrev_b32_e32 v12, v13, v15
	v_cndmask_b32_e64 v3, 0, 1, vcc_lo
	v_cmp_gt_i32_e32 vcc_lo, 31, v18
	v_and_or_b32 v9, 0x1ff, v10, v9
	v_bfe_u32 v17, v10, 20, 11
	v_lshl_or_b32 v3, v3, 9, 0x7c00
	v_cndmask_b32_e32 v11, 0x7c00, v11, vcc_lo
	v_cmp_ne_u32_e32 vcc_lo, v12, v14
	v_lshl_or_b32 v14, v16, 12, v7
	v_cndmask_b32_e64 v12, 0, 1, vcc_lo
	v_cmp_eq_u32_e32 vcc_lo, 0x40f, v18
	v_cndmask_b32_e32 v13, v11, v3, vcc_lo
	v_cmp_ne_u32_e32 vcc_lo, 0, v9
	v_or_b32_e32 v3, v15, v12
	v_lshrrev_b32_e32 v15, 8, v10
	v_cvt_f64_f32_e32 v[11:12], v5
	v_lshrrev_b32_e32 v10, 16, v10
	v_cndmask_b32_e64 v9, 0, 1, vcc_lo
	v_cmp_gt_i32_e32 vcc_lo, 1, v16
	v_and_or_b32 v9, 0xffe, v15, v9
	v_cndmask_b32_e32 v5, v14, v3, vcc_lo
	v_sub_nc_u32_e32 v3, 0x3f1, v17
	v_lshrrev_b32_e32 v15, 16, v6
	v_lshrrev_b32_e32 v14, 16, v4
	v_or_b32_e32 v19, 0x1000, v9
	v_and_b32_e32 v18, 7, v5
	v_med3_i32 v20, v3, 0, 13
	v_mul_f16_sdwa v22, v40, v15 dst_sel:DWORD dst_unused:UNUSED_PAD src0_sel:WORD_1 src1_sel:DWORD
	v_add_co_u32 v3, vcc_lo, v1, s3
	v_add_co_ci_u32_e32 v4, vcc_lo, s2, v2, vcc_lo
	v_lshrrev_b32_e32 v24, v20, v19
	v_cmp_lt_i32_e32 vcc_lo, 5, v18
	v_cmp_eq_u32_e64 s0, 3, v18
	v_fmac_f16_e32 v22, v40, v6
	v_lshrrev_b32_e32 v5, 2, v5
	v_lshlrev_b32_e32 v18, v20, v24
	v_and_or_b32 v23, 0x8000, v14, v13
	s_or_b32 vcc_lo, s0, vcc_lo
	v_cvt_f32_f16_e32 v13, v22
	v_add_co_ci_u32_e32 v5, vcc_lo, 0, v5, vcc_lo
	v_mul_f64 v[11:12], v[11:12], s[6:7]
	v_cmp_ne_u32_e32 vcc_lo, v18, v19
	v_cvt_f64_f32_e32 v[13:14], v13
	v_add_nc_u32_e32 v17, 0xfffffc10, v17
	v_mul_f16_sdwa v6, v40, v6 dst_sel:DWORD dst_unused:UNUSED_PAD src0_sel:WORD_1 src1_sel:DWORD
	v_cndmask_b32_e64 v18, 0, 1, vcc_lo
	v_cmp_ne_u32_e32 vcc_lo, 0, v7
	v_lshl_or_b32 v19, v17, 12, v9
	v_fma_f16 v6, v40, v15, -v6
	v_or_b32_e32 v18, v24, v18
	v_cndmask_b32_e64 v7, 0, 1, vcc_lo
	v_cmp_gt_i32_e32 vcc_lo, 31, v16
	v_cvt_f32_f16_e32 v6, v6
	v_lshl_or_b32 v7, v7, 9, 0x7c00
	v_cndmask_b32_e32 v5, 0x7c00, v5, vcc_lo
	v_cmp_gt_i32_e32 vcc_lo, 1, v17
	v_and_or_b32 v11, 0x1ff, v12, v11
	v_cndmask_b32_e32 v15, v19, v18, vcc_lo
	v_cmp_eq_u32_e32 vcc_lo, 0x40f, v16
	v_lshrrev_b32_e32 v18, 16, v8
	v_and_b32_e32 v19, 7, v15
	v_cndmask_b32_e32 v16, v5, v7, vcc_lo
	v_mul_f64 v[7:8], v[13:14], s[6:7]
	v_cvt_f64_f32_e32 v[5:6], v6
	v_cmp_ne_u32_e32 vcc_lo, 0, v11
	v_lshrrev_b32_e32 v13, 8, v12
	v_bfe_u32 v14, v12, 20, 11
	v_cmp_eq_u32_e64 s0, 3, v19
	v_lshrrev_b32_e32 v15, 2, v15
	v_cndmask_b32_e64 v11, 0, 1, vcc_lo
	v_cmp_lt_i32_e32 vcc_lo, 5, v19
	v_and_or_b32 v16, 0x8000, v18, v16
	v_and_b32_e32 v18, 0xffff, v23
	v_lshrrev_b32_e32 v12, 16, v12
	v_and_or_b32 v11, 0xffe, v13, v11
	v_sub_nc_u32_e32 v13, 0x3f1, v14
	s_or_b32 vcc_lo, s0, vcc_lo
	v_lshl_or_b32 v16, v16, 16, v18
	v_add_co_ci_u32_e32 v15, vcc_lo, 0, v15, vcc_lo
	v_or_b32_e32 v18, 0x1000, v11
	v_med3_i32 v13, v13, 0, 13
	v_cmp_ne_u32_e32 vcc_lo, 0, v9
	v_add_nc_u32_e32 v14, 0xfffffc10, v14
	v_and_or_b32 v7, 0x1ff, v8, v7
	v_mul_f64 v[5:6], v[5:6], s[6:7]
	v_lshrrev_b32_e32 v19, v13, v18
	v_cndmask_b32_e64 v9, 0, 1, vcc_lo
	v_cmp_gt_i32_e32 vcc_lo, 31, v17
	v_lshrrev_b32_e32 v20, 8, v8
	v_bfe_u32 v22, v8, 20, 11
	v_lshlrev_b32_e32 v13, v13, v19
	v_lshl_or_b32 v9, v9, 9, 0x7c00
	v_cndmask_b32_e32 v15, 0x7c00, v15, vcc_lo
	v_cmp_ne_u32_e32 vcc_lo, 0, v7
	v_lshrrev_b32_e32 v8, 16, v8
	v_cndmask_b32_e64 v7, 0, 1, vcc_lo
	v_cmp_ne_u32_e32 vcc_lo, v13, v18
	v_sub_nc_u32_e32 v18, 0x3f1, v22
	v_and_or_b32 v7, 0xffe, v20, v7
	v_cndmask_b32_e64 v13, 0, 1, vcc_lo
	v_cmp_eq_u32_e32 vcc_lo, 0x40f, v17
	v_med3_i32 v18, v18, 0, 13
	v_and_or_b32 v5, 0x1ff, v6, v5
	v_or_b32_e32 v17, 0x1000, v7
	v_or_b32_e32 v13, v19, v13
	v_cndmask_b32_e32 v9, v15, v9, vcc_lo
	v_lshl_or_b32 v15, v14, 12, v11
	v_cmp_gt_i32_e32 vcc_lo, 1, v14
	v_lshrrev_b32_e32 v19, 8, v6
	v_bfe_u32 v20, v6, 20, 11
	v_and_or_b32 v9, 0x8000, v10, v9
	v_cndmask_b32_e32 v13, v15, v13, vcc_lo
	v_lshrrev_b32_e32 v15, v18, v17
	v_cmp_ne_u32_e32 vcc_lo, 0, v5
	v_sub_nc_u32_e32 v10, 0x3f1, v20
	v_and_b32_e32 v9, 0xffff, v9
	v_and_b32_e32 v23, 7, v13
	v_lshlrev_b32_e32 v18, v18, v15
	v_cndmask_b32_e64 v5, 0, 1, vcc_lo
	v_lshrrev_b32_e32 v13, 2, v13
	v_med3_i32 v10, v10, 0, 13
	v_cmp_lt_i32_e32 vcc_lo, 5, v23
	v_cmp_ne_u32_e64 s0, v18, v17
	v_and_or_b32 v5, 0xffe, v19, v5
	v_add_nc_u32_e32 v19, 0xfffffc10, v22
	v_cndmask_b32_e64 v17, 0, 1, s0
	v_cmp_eq_u32_e64 s0, 3, v23
	v_or_b32_e32 v18, 0x1000, v5
	v_lshl_or_b32 v22, v19, 12, v7
	v_or_b32_e32 v15, v15, v17
	s_or_b32 vcc_lo, s0, vcc_lo
	v_lshrrev_b32_e32 v17, v10, v18
	v_add_co_ci_u32_e32 v13, vcc_lo, 0, v13, vcc_lo
	v_cmp_gt_i32_e32 vcc_lo, 1, v19
	v_lshlrev_b32_e32 v10, v10, v17
	v_cndmask_b32_e32 v15, v22, v15, vcc_lo
	v_cmp_ne_u32_e32 vcc_lo, 0, v11
	v_cndmask_b32_e64 v11, 0, 1, vcc_lo
	v_cmp_ne_u32_e32 vcc_lo, v10, v18
	v_add_nc_u32_e32 v18, 0xfffffc10, v20
	v_and_b32_e32 v20, 7, v15
	v_lshl_or_b32 v11, v11, 9, 0x7c00
	v_cndmask_b32_e64 v10, 0, 1, vcc_lo
	v_cmp_gt_i32_e32 vcc_lo, 31, v14
	v_cmp_gt_i32_e64 s1, 1, v18
	v_cmp_eq_u32_e64 s0, 3, v20
	v_or_b32_e32 v10, v17, v10
	v_lshl_or_b32 v17, v18, 12, v5
	v_cndmask_b32_e32 v13, 0x7c00, v13, vcc_lo
	v_cmp_lt_i32_e32 vcc_lo, 5, v20
	v_cndmask_b32_e64 v10, v17, v10, s1
	v_cmp_eq_u32_e64 s1, 0x40f, v14
	s_or_b32 vcc_lo, s0, vcc_lo
	v_and_b32_e32 v14, 7, v10
	v_cndmask_b32_e64 v11, v13, v11, s1
	v_lshrrev_b32_e32 v13, 2, v15
	v_lshrrev_b32_e32 v10, 2, v10
	v_cmp_gt_i32_e64 s1, 31, v19
	v_cmp_eq_u32_e64 s0, 3, v14
	v_and_or_b32 v11, 0x8000, v12, v11
	v_add_co_ci_u32_e32 v13, vcc_lo, 0, v13, vcc_lo
	v_cmp_ne_u32_e32 vcc_lo, 0, v7
	v_lshl_or_b32 v11, v11, 16, v9
	v_cndmask_b32_e64 v13, 0x7c00, v13, s1
	v_cndmask_b32_e64 v7, 0, 1, vcc_lo
	v_cmp_lt_i32_e32 vcc_lo, 5, v14
	v_lshl_or_b32 v7, v7, 9, 0x7c00
	s_or_b32 vcc_lo, s0, vcc_lo
	v_add_co_ci_u32_e32 v10, vcc_lo, 0, v10, vcc_lo
	v_cmp_ne_u32_e32 vcc_lo, 0, v5
	v_cndmask_b32_e64 v5, 0, 1, vcc_lo
	v_cmp_eq_u32_e32 vcc_lo, 0x40f, v19
	v_lshl_or_b32 v5, v5, 9, 0x7c00
	v_cndmask_b32_e32 v7, v13, v7, vcc_lo
	v_cmp_gt_i32_e32 vcc_lo, 31, v18
	v_and_or_b32 v7, 0x8000, v8, v7
	v_cndmask_b32_e32 v10, 0x7c00, v10, vcc_lo
	v_cmp_eq_u32_e32 vcc_lo, 0x40f, v18
	v_cndmask_b32_e32 v8, v10, v5, vcc_lo
	v_lshrrev_b32_e32 v10, 16, v6
	v_add_co_u32 v5, vcc_lo, v3, s3
	v_add_co_ci_u32_e32 v6, vcc_lo, s2, v4, vcc_lo
	v_and_or_b32 v9, 0x8000, v10, v8
	v_and_b32_e32 v10, 0xffff, v7
	v_add_co_u32 v7, vcc_lo, v5, s3
	v_add_co_ci_u32_e32 v8, vcc_lo, s2, v6, vcc_lo
	v_lshl_or_b32 v12, v9, 16, v10
	v_add_co_u32 v9, vcc_lo, v7, s3
	v_add_co_ci_u32_e32 v10, vcc_lo, s2, v8, vcc_lo
	global_store_dword v[1:2], v21, off
	global_store_dword v[3:4], v0, off
	;; [unrolled: 1-line block ×5, first 2 shown]
.LBB0_18:
	s_endpgm
	.section	.rodata,"a",@progbits
	.p2align	6, 0x0
	.amdhsa_kernel bluestein_single_back_len1820_dim1_half_op_CI_CI
		.amdhsa_group_segment_fixed_size 7280
		.amdhsa_private_segment_fixed_size 0
		.amdhsa_kernarg_size 104
		.amdhsa_user_sgpr_count 6
		.amdhsa_user_sgpr_private_segment_buffer 1
		.amdhsa_user_sgpr_dispatch_ptr 0
		.amdhsa_user_sgpr_queue_ptr 0
		.amdhsa_user_sgpr_kernarg_segment_ptr 1
		.amdhsa_user_sgpr_dispatch_id 0
		.amdhsa_user_sgpr_flat_scratch_init 0
		.amdhsa_user_sgpr_private_segment_size 0
		.amdhsa_wavefront_size32 1
		.amdhsa_uses_dynamic_stack 0
		.amdhsa_system_sgpr_private_segment_wavefront_offset 0
		.amdhsa_system_sgpr_workgroup_id_x 1
		.amdhsa_system_sgpr_workgroup_id_y 0
		.amdhsa_system_sgpr_workgroup_id_z 0
		.amdhsa_system_sgpr_workgroup_info 0
		.amdhsa_system_vgpr_workitem_id 0
		.amdhsa_next_free_vgpr 213
		.amdhsa_next_free_sgpr 20
		.amdhsa_reserve_vcc 1
		.amdhsa_reserve_flat_scratch 0
		.amdhsa_float_round_mode_32 0
		.amdhsa_float_round_mode_16_64 0
		.amdhsa_float_denorm_mode_32 3
		.amdhsa_float_denorm_mode_16_64 3
		.amdhsa_dx10_clamp 1
		.amdhsa_ieee_mode 1
		.amdhsa_fp16_overflow 0
		.amdhsa_workgroup_processor_mode 1
		.amdhsa_memory_ordered 1
		.amdhsa_forward_progress 0
		.amdhsa_shared_vgpr_count 0
		.amdhsa_exception_fp_ieee_invalid_op 0
		.amdhsa_exception_fp_denorm_src 0
		.amdhsa_exception_fp_ieee_div_zero 0
		.amdhsa_exception_fp_ieee_overflow 0
		.amdhsa_exception_fp_ieee_underflow 0
		.amdhsa_exception_fp_ieee_inexact 0
		.amdhsa_exception_int_div_zero 0
	.end_amdhsa_kernel
	.text
.Lfunc_end0:
	.size	bluestein_single_back_len1820_dim1_half_op_CI_CI, .Lfunc_end0-bluestein_single_back_len1820_dim1_half_op_CI_CI
                                        ; -- End function
	.section	.AMDGPU.csdata,"",@progbits
; Kernel info:
; codeLenInByte = 22168
; NumSgprs: 22
; NumVgprs: 213
; ScratchSize: 0
; MemoryBound: 0
; FloatMode: 240
; IeeeMode: 1
; LDSByteSize: 7280 bytes/workgroup (compile time only)
; SGPRBlocks: 2
; VGPRBlocks: 26
; NumSGPRsForWavesPerEU: 22
; NumVGPRsForWavesPerEU: 213
; Occupancy: 4
; WaveLimiterHint : 1
; COMPUTE_PGM_RSRC2:SCRATCH_EN: 0
; COMPUTE_PGM_RSRC2:USER_SGPR: 6
; COMPUTE_PGM_RSRC2:TRAP_HANDLER: 0
; COMPUTE_PGM_RSRC2:TGID_X_EN: 1
; COMPUTE_PGM_RSRC2:TGID_Y_EN: 0
; COMPUTE_PGM_RSRC2:TGID_Z_EN: 0
; COMPUTE_PGM_RSRC2:TIDIG_COMP_CNT: 0
	.text
	.p2alignl 6, 3214868480
	.fill 48, 4, 3214868480
	.type	__hip_cuid_e5610e850a1df3b4,@object ; @__hip_cuid_e5610e850a1df3b4
	.section	.bss,"aw",@nobits
	.globl	__hip_cuid_e5610e850a1df3b4
__hip_cuid_e5610e850a1df3b4:
	.byte	0                               ; 0x0
	.size	__hip_cuid_e5610e850a1df3b4, 1

	.ident	"AMD clang version 19.0.0git (https://github.com/RadeonOpenCompute/llvm-project roc-6.4.0 25133 c7fe45cf4b819c5991fe208aaa96edf142730f1d)"
	.section	".note.GNU-stack","",@progbits
	.addrsig
	.addrsig_sym __hip_cuid_e5610e850a1df3b4
	.amdgpu_metadata
---
amdhsa.kernels:
  - .args:
      - .actual_access:  read_only
        .address_space:  global
        .offset:         0
        .size:           8
        .value_kind:     global_buffer
      - .actual_access:  read_only
        .address_space:  global
        .offset:         8
        .size:           8
        .value_kind:     global_buffer
      - .actual_access:  read_only
        .address_space:  global
        .offset:         16
        .size:           8
        .value_kind:     global_buffer
      - .actual_access:  read_only
        .address_space:  global
        .offset:         24
        .size:           8
        .value_kind:     global_buffer
      - .actual_access:  read_only
        .address_space:  global
        .offset:         32
        .size:           8
        .value_kind:     global_buffer
      - .offset:         40
        .size:           8
        .value_kind:     by_value
      - .address_space:  global
        .offset:         48
        .size:           8
        .value_kind:     global_buffer
      - .address_space:  global
        .offset:         56
        .size:           8
        .value_kind:     global_buffer
      - .address_space:  global
        .offset:         64
        .size:           8
        .value_kind:     global_buffer
      - .address_space:  global
        .offset:         72
        .size:           8
        .value_kind:     global_buffer
      - .offset:         80
        .size:           4
        .value_kind:     by_value
      - .address_space:  global
        .offset:         88
        .size:           8
        .value_kind:     global_buffer
      - .address_space:  global
        .offset:         96
        .size:           8
        .value_kind:     global_buffer
    .group_segment_fixed_size: 7280
    .kernarg_segment_align: 8
    .kernarg_segment_size: 104
    .language:       OpenCL C
    .language_version:
      - 2
      - 0
    .max_flat_workgroup_size: 182
    .name:           bluestein_single_back_len1820_dim1_half_op_CI_CI
    .private_segment_fixed_size: 0
    .sgpr_count:     22
    .sgpr_spill_count: 0
    .symbol:         bluestein_single_back_len1820_dim1_half_op_CI_CI.kd
    .uniform_work_group_size: 1
    .uses_dynamic_stack: false
    .vgpr_count:     213
    .vgpr_spill_count: 0
    .wavefront_size: 32
    .workgroup_processor_mode: 1
amdhsa.target:   amdgcn-amd-amdhsa--gfx1030
amdhsa.version:
  - 1
  - 2
...

	.end_amdgpu_metadata
